;; amdgpu-corpus repo=ROCm/rocFFT kind=compiled arch=gfx1030 opt=O3
	.text
	.amdgcn_target "amdgcn-amd-amdhsa--gfx1030"
	.amdhsa_code_object_version 6
	.protected	bluestein_single_fwd_len338_dim1_half_op_CI_CI ; -- Begin function bluestein_single_fwd_len338_dim1_half_op_CI_CI
	.globl	bluestein_single_fwd_len338_dim1_half_op_CI_CI
	.p2align	8
	.type	bluestein_single_fwd_len338_dim1_half_op_CI_CI,@function
bluestein_single_fwd_len338_dim1_half_op_CI_CI: ; @bluestein_single_fwd_len338_dim1_half_op_CI_CI
; %bb.0:
	s_load_dwordx4 s[8:11], s[4:5], 0x28
	v_mul_u32_u24_e32 v1, 0x9d9, v0
	v_mov_b32_e32 v13, 0
	s_mov_b32 s0, exec_lo
	v_lshrrev_b32_e32 v4, 16, v1
	v_lshl_add_u32 v12, s6, 1, v4
	s_waitcnt lgkmcnt(0)
	v_cmpx_gt_u64_e64 s[8:9], v[12:13]
	s_cbranch_execz .LBB0_10
; %bb.1:
	s_clause 0x1
	s_load_dwordx4 s[0:3], s[4:5], 0x18
	s_load_dwordx4 s[12:15], s[4:5], 0x0
	v_mul_lo_u16 v1, v4, 26
	v_mov_b32_e32 v22, 0x394e
	v_mov_b32_e32 v27, 0x33a8
	;; [unrolled: 1-line block ×3, first 2 shown]
	v_sub_nc_u16 v17, v0, v1
	v_and_b32_e32 v41, 0xffff, v17
	v_lshlrev_b32_e32 v45, 2, v41
	s_waitcnt lgkmcnt(0)
	s_load_dwordx4 s[16:19], s[0:1], 0x0
	global_load_dword v43, v45, s[12:13]
	s_waitcnt lgkmcnt(0)
	v_mad_u64_u32 v[0:1], null, s18, v12, 0
	v_mad_u64_u32 v[2:3], null, s16, v41, 0
	s_mul_i32 s0, s17, 0x68
	s_mul_hi_u32 s1, s16, 0x68
	s_mul_i32 s6, s16, 0x68
	s_add_i32 s1, s1, s0
	v_mad_u64_u32 v[5:6], null, s19, v12, v[1:2]
	v_mad_u64_u32 v[6:7], null, s17, v41, v[3:4]
	v_and_b32_e32 v4, 1, v4
	v_mov_b32_e32 v1, v5
	v_mov_b32_e32 v3, v6
	v_lshlrev_b64 v[0:1], 2, v[0:1]
	v_lshlrev_b64 v[2:3], 2, v[2:3]
	v_add_co_u32 v0, vcc_lo, s10, v0
	v_add_co_ci_u32_e32 v1, vcc_lo, s11, v1, vcc_lo
	v_add_co_u32 v0, vcc_lo, v0, v2
	v_add_co_ci_u32_e32 v1, vcc_lo, v1, v3, vcc_lo
	;; [unrolled: 2-line block ×3, first 2 shown]
	global_load_dword v0, v[0:1], off
	v_add_co_u32 v5, vcc_lo, v2, s6
	v_add_co_ci_u32_e32 v6, vcc_lo, s1, v3, vcc_lo
	global_load_dword v1, v[2:3], off
	v_add_co_u32 v7, vcc_lo, v5, s6
	v_add_co_ci_u32_e32 v8, vcc_lo, s1, v6, vcc_lo
	s_clause 0x1
	global_load_dword v42, v45, s[12:13] offset:104
	global_load_dword v40, v45, s[12:13] offset:208
	s_clause 0x1
	global_load_dword v3, v[5:6], off
	global_load_dword v2, v[7:8], off
	v_add_co_u32 v5, vcc_lo, v7, s6
	v_add_co_ci_u32_e32 v6, vcc_lo, s1, v8, vcc_lo
	s_clause 0x1
	global_load_dword v39, v45, s[12:13] offset:312
	global_load_dword v38, v45, s[12:13] offset:416
	v_add_co_u32 v9, vcc_lo, v5, s6
	v_add_co_ci_u32_e32 v10, vcc_lo, s1, v6, vcc_lo
	global_load_dword v8, v[5:6], off
	v_add_co_u32 v5, vcc_lo, v9, s6
	v_add_co_ci_u32_e32 v6, vcc_lo, s1, v10, vcc_lo
	global_load_dword v9, v[9:10], off
	s_clause 0x2
	global_load_dword v37, v45, s[12:13] offset:520
	global_load_dword v36, v45, s[12:13] offset:624
	;; [unrolled: 1-line block ×3, first 2 shown]
	global_load_dword v10, v[5:6], off
	v_add_co_u32 v5, vcc_lo, v5, s6
	v_add_co_ci_u32_e32 v6, vcc_lo, s1, v6, vcc_lo
	s_clause 0x1
	global_load_dword v33, v45, s[12:13] offset:832
	global_load_dword v32, v45, s[12:13] offset:936
	v_add_co_u32 v14, vcc_lo, v5, s6
	v_add_co_ci_u32_e32 v15, vcc_lo, s1, v6, vcc_lo
	global_load_dword v13, v[5:6], off
	v_add_co_u32 v5, vcc_lo, v14, s6
	v_add_co_ci_u32_e32 v6, vcc_lo, s1, v15, vcc_lo
	global_load_dword v11, v[14:15], off
	v_add_co_u32 v15, vcc_lo, v5, s6
	v_add_co_ci_u32_e32 v16, vcc_lo, s1, v6, vcc_lo
	global_load_dword v14, v[5:6], off
	v_add_co_u32 v5, vcc_lo, v15, s6
	v_add_co_ci_u32_e32 v6, vcc_lo, s1, v16, vcc_lo
	global_load_dword v16, v[15:16], off
	v_add_co_u32 v19, vcc_lo, v5, s6
	v_add_co_ci_u32_e32 v20, vcc_lo, s1, v6, vcc_lo
	global_load_dword v31, v45, s[12:13] offset:1040
	global_load_dword v18, v[5:6], off
	global_load_dword v19, v[19:20], off
	s_clause 0x1
	global_load_dword v30, v45, s[12:13] offset:1144
	global_load_dword v29, v45, s[12:13] offset:1248
	v_cmp_eq_u32_e32 vcc_lo, 1, v4
	s_load_dwordx4 s[8:11], s[2:3], 0x0
	v_mov_b32_e32 v7, 0xb770
	v_mov_b32_e32 v5, 0xbbf1
	v_mov_b32_e32 v4, 0xbb7b
	v_cndmask_b32_e64 v44, 0, 0x548, vcc_lo
	v_mov_b32_e32 v6, 0xb94e
	s_load_dwordx2 s[2:3], s[4:5], 0x38
	v_cmp_gt_u16_e32 vcc_lo, 13, v17
	v_add_nc_u32_e32 v34, v44, v45
	v_add_nc_u32_e32 v15, 0x400, v34
	s_waitcnt vmcnt(24)
	v_lshrrev_b32_e32 v20, 16, v0
	v_mul_f16_sdwa v21, v43, v0 dst_sel:DWORD dst_unused:UNUSED_PAD src0_sel:WORD_1 src1_sel:DWORD
	v_mul_f16_sdwa v23, v43, v20 dst_sel:DWORD dst_unused:UNUSED_PAD src0_sel:WORD_1 src1_sel:DWORD
	s_waitcnt vmcnt(23)
	v_lshrrev_b32_e32 v24, 16, v1
	s_waitcnt vmcnt(22)
	v_mul_f16_sdwa v25, v42, v1 dst_sel:DWORD dst_unused:UNUSED_PAD src0_sel:WORD_1 src1_sel:DWORD
	v_fma_f16 v20, v43, v20, -v21
	s_waitcnt vmcnt(20)
	v_lshrrev_b32_e32 v21, 16, v3
	v_fmac_f16_e32 v23, v43, v0
	v_mul_f16_sdwa v0, v42, v24 dst_sel:DWORD dst_unused:UNUSED_PAD src0_sel:WORD_1 src1_sel:DWORD
	v_fma_f16 v24, v42, v24, -v25
	v_mul_f16_sdwa v25, v40, v3 dst_sel:DWORD dst_unused:UNUSED_PAD src0_sel:WORD_1 src1_sel:DWORD
	s_waitcnt vmcnt(18)
	v_mul_f16_sdwa v26, v39, v2 dst_sel:DWORD dst_unused:UNUSED_PAD src0_sel:WORD_1 src1_sel:DWORD
	v_pack_b32_f16 v20, v23, v20
	v_fmac_f16_e32 v0, v42, v1
	v_mul_f16_sdwa v1, v40, v21 dst_sel:DWORD dst_unused:UNUSED_PAD src0_sel:WORD_1 src1_sel:DWORD
	v_lshrrev_b32_e32 v23, 16, v2
	v_fma_f16 v21, v40, v21, -v25
	s_waitcnt vmcnt(16)
	v_mul_f16_sdwa v25, v38, v8 dst_sel:DWORD dst_unused:UNUSED_PAD src0_sel:WORD_1 src1_sel:DWORD
	v_pack_b32_f16 v0, v0, v24
	v_fmac_f16_e32 v1, v40, v3
	v_mul_f16_sdwa v3, v39, v23 dst_sel:DWORD dst_unused:UNUSED_PAD src0_sel:WORD_1 src1_sel:DWORD
	v_lshrrev_b32_e32 v24, 16, v8
	v_fma_f16 v23, v39, v23, -v26
	ds_write2_b32 v34, v20, v0 offset1:26
	v_pack_b32_f16 v0, v1, v21
	v_fmac_f16_e32 v3, v39, v2
	v_mul_f16_sdwa v1, v38, v24 dst_sel:DWORD dst_unused:UNUSED_PAD src0_sel:WORD_1 src1_sel:DWORD
	s_waitcnt vmcnt(15)
	v_lshrrev_b32_e32 v2, 16, v9
	s_waitcnt vmcnt(14)
	v_mul_f16_sdwa v20, v37, v9 dst_sel:DWORD dst_unused:UNUSED_PAD src0_sel:WORD_1 src1_sel:DWORD
	v_fma_f16 v21, v38, v24, -v25
	v_pack_b32_f16 v3, v3, v23
	v_fmac_f16_e32 v1, v38, v8
	v_mul_f16_sdwa v8, v37, v2 dst_sel:DWORD dst_unused:UNUSED_PAD src0_sel:WORD_1 src1_sel:DWORD
	v_fma_f16 v2, v37, v2, -v20
	s_waitcnt vmcnt(11)
	v_lshrrev_b32_e32 v20, 16, v10
	ds_write2_b32 v34, v0, v3 offset0:52 offset1:78
	s_waitcnt vmcnt(8)
	v_lshrrev_b32_e32 v3, 16, v13
	v_fmac_f16_e32 v8, v37, v9
	v_mul_f16_sdwa v23, v36, v10 dst_sel:DWORD dst_unused:UNUSED_PAD src0_sel:WORD_1 src1_sel:DWORD
	v_pack_b32_f16 v0, v1, v21
	v_mul_f16_sdwa v1, v36, v20 dst_sel:DWORD dst_unused:UNUSED_PAD src0_sel:WORD_1 src1_sel:DWORD
	v_mul_f16_sdwa v9, v35, v13 dst_sel:DWORD dst_unused:UNUSED_PAD src0_sel:WORD_1 src1_sel:DWORD
	v_pack_b32_f16 v2, v8, v2
	v_mul_f16_sdwa v8, v35, v3 dst_sel:DWORD dst_unused:UNUSED_PAD src0_sel:WORD_1 src1_sel:DWORD
	v_fma_f16 v20, v36, v20, -v23
	v_fmac_f16_e32 v1, v36, v10
	v_fma_f16 v3, v35, v3, -v9
	s_waitcnt vmcnt(7)
	v_lshrrev_b32_e32 v9, 16, v11
	v_mul_f16_sdwa v10, v33, v11 dst_sel:DWORD dst_unused:UNUSED_PAD src0_sel:WORD_1 src1_sel:DWORD
	v_fmac_f16_e32 v8, v35, v13
	s_waitcnt vmcnt(6)
	v_lshrrev_b32_e32 v13, 16, v14
	v_pack_b32_f16 v1, v1, v20
	v_mul_f16_sdwa v20, v33, v9 dst_sel:DWORD dst_unused:UNUSED_PAD src0_sel:WORD_1 src1_sel:DWORD
	v_fma_f16 v9, v33, v9, -v10
	v_mul_f16_sdwa v10, v32, v14 dst_sel:DWORD dst_unused:UNUSED_PAD src0_sel:WORD_1 src1_sel:DWORD
	v_pack_b32_f16 v3, v8, v3
	v_mul_f16_sdwa v8, v32, v13 dst_sel:DWORD dst_unused:UNUSED_PAD src0_sel:WORD_1 src1_sel:DWORD
	v_fmac_f16_e32 v20, v33, v11
	s_waitcnt vmcnt(5)
	v_lshrrev_b32_e32 v11, 16, v16
	v_fma_f16 v10, v32, v13, -v10
	s_waitcnt vmcnt(4)
	v_mul_f16_sdwa v13, v31, v16 dst_sel:DWORD dst_unused:UNUSED_PAD src0_sel:WORD_1 src1_sel:DWORD
	v_fmac_f16_e32 v8, v32, v14
	s_waitcnt vmcnt(3)
	v_lshrrev_b32_e32 v14, 16, v18
	s_waitcnt vmcnt(2)
	v_lshrrev_b32_e32 v23, 16, v19
	v_mul_f16_sdwa v21, v31, v11 dst_sel:DWORD dst_unused:UNUSED_PAD src0_sel:WORD_1 src1_sel:DWORD
	v_fma_f16 v11, v31, v11, -v13
	s_waitcnt vmcnt(1)
	v_mul_f16_sdwa v13, v30, v18 dst_sel:DWORD dst_unused:UNUSED_PAD src0_sel:WORD_1 src1_sel:DWORD
	v_mul_f16_sdwa v24, v30, v14 dst_sel:DWORD dst_unused:UNUSED_PAD src0_sel:WORD_1 src1_sel:DWORD
	s_waitcnt vmcnt(0)
	v_mul_f16_sdwa v25, v29, v19 dst_sel:DWORD dst_unused:UNUSED_PAD src0_sel:WORD_1 src1_sel:DWORD
	v_mul_f16_sdwa v26, v29, v23 dst_sel:DWORD dst_unused:UNUSED_PAD src0_sel:WORD_1 src1_sel:DWORD
	v_fmac_f16_e32 v21, v31, v16
	v_fma_f16 v13, v30, v14, -v13
	v_fmac_f16_e32 v24, v30, v18
	v_fma_f16 v14, v29, v23, -v25
	v_fmac_f16_e32 v26, v29, v19
	v_pack_b32_f16 v9, v20, v9
	v_pack_b32_f16 v8, v8, v10
	;; [unrolled: 1-line block ×5, first 2 shown]
	ds_write2_b32 v34, v0, v2 offset0:104 offset1:130
	ds_write2_b32 v34, v1, v3 offset0:156 offset1:182
	;; [unrolled: 1-line block ×4, first 2 shown]
	ds_write_b32 v34, v13 offset:1248
	s_waitcnt lgkmcnt(0)
	s_barrier
	buffer_gl0_inv
	ds_read2_b32 v[9:10], v34 offset1:26
	ds_read_b32 v8, v34 offset:1248
	ds_read2_b32 v[13:14], v34 offset0:52 offset1:78
	ds_read2_b32 v[18:19], v34 offset0:104 offset1:130
	;; [unrolled: 1-line block ×4, first 2 shown]
	v_mul_lo_u16 v11, v17, 13
	ds_read2_b32 v[20:21], v34 offset0:156 offset1:182
	v_mov_b32_e32 v16, 0x3bf1
	v_mov_b32_e32 v23, 0xba95
	;; [unrolled: 1-line block ×3, first 2 shown]
	v_and_b32_e32 v11, 0xffff, v11
	v_mov_b32_e32 v25, 0x3b7b
	v_mov_b32_e32 v26, 0x3770
	s_waitcnt lgkmcnt(0)
	s_barrier
	v_lshl_add_u32 v46, v11, 2, v44
	buffer_gl0_inv
                                        ; implicit-def: $vgpr17
	v_pk_add_f16 v11, v9, v10
	v_pk_add_f16 v47, v8, v10
	v_pk_add_f16 v10, v10, v8 neg_lo:[0,1] neg_hi:[0,1]
	v_pk_add_f16 v48, v1, v13
	v_pk_add_f16 v11, v11, v13
	;; [unrolled: 1-line block ×3, first 2 shown]
	v_pk_add_f16 v50, v18, v3 neg_lo:[0,1] neg_hi:[0,1]
	v_pk_add_f16 v51, v2, v19
	v_pk_add_f16 v52, v19, v2 neg_lo:[0,1] neg_hi:[0,1]
	v_pk_add_f16 v53, v13, v1 neg_lo:[0,1] neg_hi:[0,1]
	v_pk_add_f16 v54, v0, v14
	v_pk_add_f16 v55, v14, v0 neg_lo:[0,1] neg_hi:[0,1]
	v_pk_mul_f16 v13, 0x3b15388b, v47
	v_pk_add_f16 v11, v11, v14
	v_mul_f16_sdwa v7, v10, v7 dst_sel:DWORD dst_unused:UNUSED_PAD src0_sel:WORD_1 src1_sel:DWORD
	v_lshrrev_b32_e32 v58, 16, v47
	v_mul_f16_e32 v59, 0xba95, v10
	v_mul_f16_sdwa v60, v10, v5 dst_sel:DWORD dst_unused:UNUSED_PAD src0_sel:WORD_1 src1_sel:DWORD
	v_mul_f16_e32 v61, 0xbbf1, v10
	v_mul_f16_sdwa v62, v10, v4 dst_sel:DWORD dst_unused:UNUSED_PAD src0_sel:WORD_1 src1_sel:DWORD
	;; [unrolled: 2-line block ×3, first 2 shown]
	v_mul_f16_e32 v65, 0xb94e, v10
	v_pk_mul_f16 v66, 0xbbc4, v47 op_sel_hi:[0,1]
	v_lshrrev_b32_e32 v67, 16, v48
	v_mul_f16_e32 v68, 0xbb7b, v53
	v_mul_f16_e32 v69, 0xb3a8, v53
	v_mul_f16_e32 v70, 0x394e, v53
	v_mul_f16_e32 v71, 0x3bf1, v53
	v_lshrrev_b32_e32 v72, 16, v54
	v_mul_f16_e32 v73, 0xb3a8, v55
	v_mul_f16_e32 v74, 0x3b7b, v55
	v_mul_f16_e32 v75, 0x3770, v55
	v_mul_f16_e32 v76, 0xba95, v55
	;; [unrolled: 5-line block ×4, first 2 shown]
	v_mul_f16_sdwa v22, v53, v22 dst_sel:DWORD dst_unused:UNUSED_PAD src0_sel:WORD_1 src1_sel:DWORD
	v_mul_f16_sdwa v16, v53, v16 dst_sel:DWORD dst_unused:UNUSED_PAD src0_sel:WORD_1 src1_sel:DWORD
	;; [unrolled: 1-line block ×4, first 2 shown]
	v_pk_mul_f16 v89, 0x388bb5ac, v48
	v_pk_fma_f16 v111, 0xba95b770, v10, v13 op_sel:[0,0,1] op_sel_hi:[1,1,0] neg_lo:[0,1,0] neg_hi:[0,1,0]
	v_pk_fma_f16 v13, 0xba95b770, v10, v13 op_sel:[0,0,1] op_sel_hi:[1,1,0]
	v_pk_add_f16 v11, v11, v18
	v_pk_mul_f16 v90, 0x3b15, v48 op_sel_hi:[0,1]
	v_mul_f16_sdwa v25, v55, v25 dst_sel:DWORD dst_unused:UNUSED_PAD src0_sel:WORD_1 src1_sel:DWORD
	v_mul_f16_sdwa v91, v55, v5 dst_sel:DWORD dst_unused:UNUSED_PAD src0_sel:WORD_1 src1_sel:DWORD
	;; [unrolled: 1-line block ×4, first 2 shown]
	v_pk_mul_f16 v94, 0x2fb7bbc4, v54
	v_fma_f16 v14, v47, 0x3b15, -v7
	v_fmac_f16_e32 v7, 0x3b15, v47
	v_fmamk_f16 v112, v58, 0x388b, v59
	v_fma_f16 v59, v58, 0x388b, -v59
	v_fma_f16 v113, v47, 0x2fb7, -v60
	v_fmamk_f16 v114, v58, 0x2fb7, v61
	v_fmac_f16_e32 v60, 0x2fb7, v47
	v_fma_f16 v61, v58, 0x2fb7, -v61
	v_fma_f16 v115, v47, 0xb5ac, -v62
	v_fmamk_f16 v116, v58, 0xb5ac, v63
	v_fmac_f16_e32 v62, 0xb5ac, v47
	v_fma_f16 v63, v58, 0xb5ac, -v63
	v_fma_f16 v117, v47, 0xb9fd, -v64
	v_fmac_f16_e32 v64, 0xb9fd, v47
	v_fmamk_f16 v47, v58, 0xb9fd, v65
	v_fma_f16 v58, v58, 0xb9fd, -v65
	v_pk_fma_f16 v65, 0xb3a8, v10, v66 op_sel:[0,0,1] op_sel_hi:[0,1,0] neg_lo:[0,1,0] neg_hi:[0,1,0]
	v_pk_fma_f16 v10, 0xb3a8, v10, v66 op_sel:[0,0,1] op_sel_hi:[0,1,0]
	v_fmamk_f16 v66, v67, 0xb5ac, v68
	v_fma_f16 v68, v67, 0xb5ac, -v68
	v_fmamk_f16 v118, v67, 0xbbc4, v69
	v_fma_f16 v69, v67, 0xbbc4, -v69
	;; [unrolled: 2-line block ×16, first 2 shown]
	v_fma_f16 v86, v48, 0x388b, -v87
	v_fmac_f16_e32 v87, 0x388b, v48
	v_fma_f16 v130, v48, 0xbbc4, -v88
	v_fmac_f16_e32 v88, 0xbbc4, v48
	v_fma_f16 v131, v48, 0xb9fd, -v22
	v_fmac_f16_e32 v22, 0xb9fd, v48
	v_fma_f16 v132, v48, 0x2fb7, -v16
	v_fmac_f16_e32 v16, 0x2fb7, v48
	v_pk_fma_f16 v48, 0xbb7bba95, v53, v89 op_sel:[0,0,1] op_sel_hi:[1,1,0] neg_lo:[0,1,0] neg_hi:[0,1,0]
	v_pk_fma_f16 v89, 0xbb7bba95, v53, v89 op_sel:[0,0,1] op_sel_hi:[1,1,0]
	v_bfi_b32 v18, 0xffff, v13, v111
	v_pk_add_f16 v11, v11, v19
	v_pk_mul_f16 v95, 0xb9fd, v54 op_sel_hi:[0,1]
	v_mul_f16_sdwa v5, v50, v5 dst_sel:DWORD dst_unused:UNUSED_PAD src0_sel:WORD_1 src1_sel:DWORD
	v_mul_f16_sdwa v96, v50, v4 dst_sel:DWORD dst_unused:UNUSED_PAD src0_sel:WORD_1 src1_sel:DWORD
	;; [unrolled: 1-line block ×4, first 2 shown]
	v_pk_mul_f16 v99, 0xb5acb9fd, v49
	v_pk_fma_f16 v133, 0x3770, v53, v90 op_sel:[0,0,1] op_sel_hi:[0,1,0] neg_lo:[0,1,0] neg_hi:[0,1,0]
	v_pk_fma_f16 v53, 0x3770, v53, v90 op_sel:[0,0,1] op_sel_hi:[0,1,0]
	v_fma_f16 v90, v54, 0x2fb7, -v91
	v_fmac_f16_e32 v91, 0x2fb7, v54
	v_fma_f16 v134, v54, 0xb5ac, -v25
	v_fmac_f16_e32 v25, 0xb5ac, v54
	;; [unrolled: 2-line block ×4, first 2 shown]
	v_pk_fma_f16 v54, 0xb3a8bbf1, v55, v94 op_sel:[0,0,1] op_sel_hi:[1,1,0] neg_lo:[0,1,0] neg_hi:[0,1,0]
	v_pk_fma_f16 v94, 0xb3a8bbf1, v55, v94 op_sel:[0,0,1] op_sel_hi:[1,1,0]
	v_add_f16_e32 v14, v9, v14
	v_add_f16_e32 v7, v9, v7
	v_add_f16_sdwa v112, v9, v112 dst_sel:DWORD dst_unused:UNUSED_PAD src0_sel:WORD_1 src1_sel:DWORD
	v_pk_add_f16 v13, v9, v13 op_sel:[1,0] op_sel_hi:[0,1]
	v_add_f16_sdwa v59, v9, v59 dst_sel:DWORD dst_unused:UNUSED_PAD src0_sel:WORD_1 src1_sel:DWORD
	v_add_f16_e32 v113, v9, v113
	v_add_f16_sdwa v114, v9, v114 dst_sel:DWORD dst_unused:UNUSED_PAD src0_sel:WORD_1 src1_sel:DWORD
	v_add_f16_e32 v60, v9, v60
	;; [unrolled: 2-line block ×6, first 2 shown]
	v_add_f16_sdwa v58, v9, v58 dst_sel:DWORD dst_unused:UNUSED_PAD src0_sel:WORD_1 src1_sel:DWORD
	v_add_f16_sdwa v111, v9, v111 dst_sel:DWORD dst_unused:UNUSED_PAD src0_sel:WORD_1 src1_sel:DWORD
	v_pk_add_f16 v65, v9, v65 op_sel:[1,0] op_sel_hi:[0,1]
	v_pk_add_f16 v10, v9, v10 op_sel:[1,0] op_sel_hi:[0,1]
	v_bfi_b32 v154, 0xffff, v89, v48
	v_pk_add_f16 v9, v9, v18 op_sel:[1,0] op_sel_hi:[0,1]
	v_pk_add_f16 v11, v11, v20
	v_pk_add_f16 v56, v21, v20
	v_pk_add_f16 v57, v20, v21 neg_lo:[0,1] neg_hi:[0,1]
	v_pk_mul_f16 v100, 0x388b, v49 op_sel_hi:[0,1]
	v_pk_mul_f16 v102, 0xb9fd2fb7, v51
	v_pk_fma_f16 v137, 0xb94e, v55, v95 op_sel:[0,0,1] op_sel_hi:[0,1,0] neg_lo:[0,1,0] neg_hi:[0,1,0]
	v_pk_fma_f16 v55, 0xb94e, v55, v95 op_sel:[0,0,1] op_sel_hi:[0,1,0]
	v_fma_f16 v95, v49, 0xb5ac, -v96
	v_fmac_f16_e32 v96, 0xb5ac, v49
	v_fma_f16 v138, v49, 0x3b15, -v97
	v_fmac_f16_e32 v97, 0x3b15, v49
	;; [unrolled: 2-line block ×4, first 2 shown]
	v_pk_fma_f16 v49, 0x394ebb7b, v50, v99 op_sel:[0,0,1] op_sel_hi:[1,1,0] neg_lo:[0,1,0] neg_hi:[0,1,0]
	v_pk_fma_f16 v99, 0x394ebb7b, v50, v99 op_sel:[0,0,1] op_sel_hi:[1,1,0]
	v_bfi_b32 v155, 0xffff, v94, v54
	v_add_f16_e32 v14, v86, v14
	v_add_f16_e32 v18, v66, v112
	;; [unrolled: 1-line block ×9, first 2 shown]
	v_pk_add_f16 v9, v154, v9
	v_pk_add_f16 v11, v11, v21
	v_mul_f16_sdwa v101, v52, v6 dst_sel:DWORD dst_unused:UNUSED_PAD src0_sel:WORD_1 src1_sel:DWORD
	v_mul_f16_sdwa v23, v52, v23 dst_sel:DWORD dst_unused:UNUSED_PAD src0_sel:WORD_1 src1_sel:DWORD
	;; [unrolled: 1-line block ×3, first 2 shown]
	v_pk_mul_f16 v103, 0xbbc43b15, v56
	v_lshrrev_b32_e32 v104, 16, v56
	v_mul_f16_e32 v105, 0x3770, v57
	v_mul_f16_e32 v106, 0x3a95, v57
	;; [unrolled: 1-line block ×3, first 2 shown]
	v_pk_fma_f16 v145, 0x3bf1b94e, v52, v102 op_sel:[0,0,1] op_sel_hi:[1,1,0] neg_lo:[0,1,0] neg_hi:[0,1,0]
	v_pk_fma_f16 v102, 0x3bf1b94e, v52, v102 op_sel:[0,0,1] op_sel_hi:[1,1,0]
	v_bfi_b32 v156, 0xffff, v99, v49
	v_add_f16_e32 v16, v16, v64
	v_add_f16_e32 v48, v48, v111
	v_pk_add_f16 v64, v133, v65
	v_pk_add_f16 v10, v53, v10
	v_add_f16_e32 v14, v90, v14
	v_add_f16_e32 v18, v71, v18
	;; [unrolled: 1-line block ×9, first 2 shown]
	v_pk_add_f16 v9, v155, v9
	v_pk_add_f16 v2, v11, v2
	v_mul_f16_sdwa v26, v52, v26 dst_sel:DWORD dst_unused:UNUSED_PAD src0_sel:WORD_1 src1_sel:DWORD
	v_mul_f16_sdwa v24, v57, v24 dst_sel:DWORD dst_unused:UNUSED_PAD src0_sel:WORD_1 src1_sel:DWORD
	;; [unrolled: 1-line block ×4, first 2 shown]
	v_pk_fma_f16 v141, 0x3a95, v50, v100 op_sel:[0,0,1] op_sel_hi:[0,1,0] neg_lo:[0,1,0] neg_hi:[0,1,0]
	v_pk_fma_f16 v50, 0x3a95, v50, v100 op_sel:[0,0,1] op_sel_hi:[0,1,0]
	v_fma_f16 v100, v51, 0xb9fd, -v101
	v_fma_f16 v142, v51, 0x388b, -v23
	v_fmac_f16_e32 v23, 0x388b, v51
	v_fma_f16 v143, v51, 0xbbc4, -v27
	v_pk_fma_f16 v146, 0x3770b3a8, v57, v103 op_sel:[0,0,1] op_sel_hi:[1,1,0] neg_lo:[0,1,0] neg_hi:[0,1,0]
	v_pk_fma_f16 v147, 0x3770b3a8, v57, v103 op_sel:[0,0,1] op_sel_hi:[1,1,0]
	v_fmamk_f16 v148, v104, 0x3b15, v105
	v_fma_f16 v105, v104, 0x3b15, -v105
	v_fmamk_f16 v150, v104, 0x388b, v106
	v_fma_f16 v106, v104, 0x388b, -v106
	;; [unrolled: 2-line block ×3, first 2 shown]
	v_mul_f16_e32 v104, 0xb9fd, v104
	v_bfi_b32 v157, 0xffff, v102, v145
	v_add_f16_e32 v7, v87, v7
	v_add_f16_e32 v58, v67, v58
	v_pk_add_f16 v13, v89, v13
	v_add_f16_e32 v16, v93, v16
	v_add_f16_e32 v48, v54, v48
	v_pk_add_f16 v54, v137, v64
	v_pk_add_f16 v10, v55, v10
	v_add_f16_e32 v14, v95, v14
	v_add_f16_e32 v18, v76, v18
	;; [unrolled: 1-line block ×9, first 2 shown]
	v_pk_add_f16 v9, v156, v9
	v_pk_add_f16 v2, v2, v3
	v_mul_f16_sdwa v4, v57, v4 dst_sel:DWORD dst_unused:UNUSED_PAD src0_sel:WORD_1 src1_sel:DWORD
	v_pk_mul_f16 v110, 0xb5ac, v51 op_sel_hi:[0,1]
	v_fmac_f16_e32 v101, 0xb9fd, v51
	v_fmac_f16_e32 v27, 0xbbc4, v51
	v_fma_f16 v144, v51, 0x3b15, -v26
	v_fmac_f16_e32 v26, 0x3b15, v51
	v_fma_f16 v51, v56, 0xbbc4, -v24
	v_fma_f16 v149, v56, 0xb9fd, -v6
	v_fmac_f16_e32 v6, 0xb9fd, v56
	v_fma_f16 v152, v56, 0x388b, -v28
	v_bfi_b32 v147, 0xffff, v147, v146
	v_fmamk_f16 v158, v57, 0xb94e, v104
	v_add_f16_e32 v22, v22, v62
	v_add_f16_e32 v62, v70, v63
	;; [unrolled: 1-line block ×6, first 2 shown]
	v_pk_add_f16 v13, v94, v13
	v_add_f16_e32 v16, v98, v16
	v_add_f16_e32 v48, v49, v48
	v_pk_add_f16 v49, v141, v54
	v_add_f16_e32 v11, v100, v14
	v_add_f16_e32 v14, v81, v18
	;; [unrolled: 1-line block ×8, first 2 shown]
	v_pk_add_f16 v3, v157, v9
	v_pk_add_f16 v2, v2, v0
	v_mul_f16_e32 v109, 0xb94e, v57
	v_fma_f16 v153, v56, 0xb5ac, -v4
	v_fmac_f16_e32 v4, 0xb5ac, v56
	v_add_f16_e32 v22, v92, v22
	v_add_f16_e32 v63, v136, v63
	;; [unrolled: 1-line block ×5, first 2 shown]
	v_pk_add_f16 v13, v99, v13
	v_add_f16_e32 v16, v26, v16
	v_add_f16_e32 v9, v51, v11
	;; [unrolled: 1-line block ×9, first 2 shown]
	v_pk_add_f16 v3, v147, v3
	v_pk_add_f16 v1, v2, v1
	v_add_f16_e32 v62, v75, v62
	v_pk_mul_f16 v108, 0x3770b3a8, v57
	v_fmac_f16_e32 v24, 0xbbc4, v56
	v_add_f16_e32 v5, v5, v22
	v_add_f16_e32 v60, v140, v63
	;; [unrolled: 1-line block ×6, first 2 shown]
	v_alignbit_b32 v11, v11, v3, 16
	v_pack_b32_f16 v3, v9, v3
	v_pk_add_f16 v1, v1, v8
	v_pk_fma_f16 v8, 0xbb7b, v52, v110 op_sel:[0,0,1] op_sel_hi:[0,1,0] neg_lo:[0,1,0] neg_hi:[0,1,0]
	v_pk_add_f16 v9, v50, v10
	v_pk_fma_f16 v10, 0xbb7b, v52, v110 op_sel:[0,0,1] op_sel_hi:[0,1,0]
	v_pk_mul_f16 v16, 0x2fb7, v56 op_sel_hi:[0,1]
	v_pack_b32_f16 v21, v21, v23
	v_bfi_b32 v23, 0xffff, v109, v13
	v_add_f16_e32 v22, v80, v62
	v_add_f16_e32 v5, v27, v5
	;; [unrolled: 1-line block ×6, first 2 shown]
	v_pk_add_f16 v8, v8, v49
	v_pk_add_f16 v9, v10, v9
	v_pk_fma_f16 v10, 0x3bf1, v57, v16 op_sel:[0,0,1] op_sel_hi:[0,1,0] neg_lo:[0,1,0] neg_hi:[0,1,0]
	v_pack_b32_f16 v24, v84, v103
	v_bfi_b32 v26, 0xffff, v53, v108
	v_pk_add_f16 v23, v104, v23 neg_lo:[0,1] neg_hi:[0,1]
	v_pk_add_f16 v13, v102, v13
	v_pk_fma_f16 v16, 0x3bf1, v57, v16 op_sel:[0,0,1] op_sel_hi:[0,1,0]
	v_fmac_f16_e32 v28, 0x388b, v56
	v_add_f16_e32 v22, v85, v22
	v_add_f16_e32 v25, v153, v27
	v_add_f16_e32 v7, v151, v47
	v_pk_add_f16 v8, v10, v8
	v_pk_add_f16 v10, v24, v26
	v_bfi_b32 v13, 0xffff, v23, v13
	v_add_f16_e32 v18, v145, v48
	v_pack_b32_f16 v19, v19, v20
	v_pk_add_f16 v9, v16, v9
	v_add_f16_e32 v5, v28, v5
	v_add_f16_e32 v22, v106, v22
	ds_write2_b32 v46, v3, v11 offset0:1 offset1:2
	ds_write2_b32 v46, v19, v21 offset0:3 offset1:4
	v_pack_b32_f16 v3, v25, v7
	v_pk_add_f16 v7, v13, v10
	v_add_f16_e32 v18, v146, v18
	v_alignbit_b32 v10, v8, v9, 16
	v_alignbit_b32 v8, v9, v8, 16
	v_pack_b32_f16 v5, v5, v22
	v_pack_b32_f16 v2, v2, v4
	v_alignbit_b32 v4, v14, v7, 16
	v_pack_b32_f16 v6, v6, v7
	v_pack_b32_f16 v7, v0, v18
	ds_write2_b32 v46, v1, v3 offset1:5
	ds_write2_b32 v46, v8, v10 offset0:6 offset1:7
	ds_write2_b32 v46, v2, v5 offset0:8 offset1:9
	;; [unrolled: 1-line block ×3, first 2 shown]
	ds_write_b32 v46, v7 offset:48
	s_waitcnt lgkmcnt(0)
	s_barrier
	buffer_gl0_inv
	ds_read2_b32 v[2:3], v34 offset1:26
	ds_read2_b32 v[10:11], v34 offset0:169 offset1:195
	ds_read2_b32 v[4:5], v34 offset0:52 offset1:78
	;; [unrolled: 1-line block ×5, first 2 shown]
	v_add_co_u32 v15, s0, s12, v45
	v_add_co_ci_u32_e64 v16, null, s13, 0, s0
                                        ; kill: def $vgpr1 killed $sgpr0 killed $exec
	s_and_saveexec_b32 s0, vcc_lo
	s_cbranch_execz .LBB0_3
; %bb.2:
	v_add_nc_u32_e32 v0, 0x200, v34
	ds_read2_b32 v[0:1], v0 offset0:28 offset1:197
	s_waitcnt lgkmcnt(0)
	v_lshrrev_b32_e32 v18, 16, v0
	v_lshrrev_b32_e32 v17, 16, v1
.LBB0_3:
	s_or_b32 exec_lo, exec_lo, s0
	v_add_nc_u16 v22, v41, 26
	v_add_co_u32 v19, s0, v41, -13
	v_add_co_ci_u32_e64 v20, null, 0, -1, s0
	v_and_b32_e32 v21, 0xff, v22
	v_add_nc_u16 v24, v41, 52
	v_add_nc_u16 v25, v41, 0x4e
	v_cndmask_b32_e64 v20, v20, 0, vcc_lo
	v_cndmask_b32_e32 v19, v19, v41, vcc_lo
	v_mul_lo_u16 v21, 0x4f, v21
	v_add_nc_u16 v26, v41, 0x68
	v_add_nc_u16 v27, v41, 0x82
	v_and_b32_e32 v47, 0xff, v24
	v_and_b32_e32 v48, 0xff, v25
	v_lshrrev_b16 v56, 10, v21
	v_lshlrev_b64 v[20:21], 2, v[19:20]
	v_add_nc_u16 v28, v41, 0x9c
	v_and_b32_e32 v49, 0xff, v26
	v_mul_lo_u16 v47, 0x4f, v47
	v_and_b32_e32 v51, 0xff, v27
	v_mul_lo_u16 v48, 0x4f, v48
	v_add_co_u32 v20, s0, s14, v20
	v_mul_lo_u16 v50, v56, 13
	v_lshrrev_b16 v57, 10, v47
	v_add_co_ci_u32_e64 v21, s0, s15, v21, s0
	v_lshrrev_b16 v58, 10, v48
	v_mul_lo_u16 v48, 0x4f, v49
	v_mul_lo_u16 v49, 0x4f, v51
	v_and_b32_e32 v51, 0xff, v28
	v_sub_nc_u16 v22, v22, v50
	v_mul_lo_u16 v50, v57, 13
	v_mul_lo_u16 v53, v58, 13
	v_lshrrev_b16 v59, 10, v48
	global_load_dword v52, v[20:21], off
	v_mul_lo_u16 v20, 0x4f, v51
	v_lshrrev_b16 v60, 10, v49
	v_mov_b32_e32 v23, 2
	v_sub_nc_u16 v21, v24, v50
	v_mul_lo_u16 v24, v59, 13
	v_sub_nc_u16 v25, v25, v53
	v_lshrrev_b16 v20, 10, v20
	v_mul_lo_u16 v48, v60, 13
	v_lshlrev_b32_sdwa v47, v23, v22 dst_sel:DWORD dst_unused:UNUSED_PAD src0_sel:DWORD src1_sel:BYTE_0
	v_lshlrev_b32_sdwa v49, v23, v21 dst_sel:DWORD dst_unused:UNUSED_PAD src0_sel:DWORD src1_sel:BYTE_0
	v_sub_nc_u16 v24, v26, v24
	v_lshlrev_b32_sdwa v26, v23, v25 dst_sel:DWORD dst_unused:UNUSED_PAD src0_sel:DWORD src1_sel:BYTE_0
	v_mul_lo_u16 v20, v20, 13
	v_sub_nc_u16 v27, v27, v48
	s_clause 0x2
	global_load_dword v54, v47, s[14:15]
	global_load_dword v53, v49, s[14:15]
	;; [unrolled: 1-line block ×3, first 2 shown]
	v_lshlrev_b32_sdwa v47, v23, v24 dst_sel:DWORD dst_unused:UNUSED_PAD src0_sel:DWORD src1_sel:BYTE_0
	v_sub_nc_u16 v20, v28, v20
	v_lshlrev_b32_sdwa v23, v23, v27 dst_sel:DWORD dst_unused:UNUSED_PAD src0_sel:DWORD src1_sel:BYTE_0
	s_clause 0x1
	global_load_dword v50, v47, s[14:15]
	global_load_dword v49, v23, s[14:15]
	v_and_b32_e32 v47, 0xff, v20
	v_cmp_lt_u16_e64 s0, 12, v41
	v_mov_b32_e32 v66, 26
	s_waitcnt lgkmcnt(4)
	v_lshrrev_b32_e32 v23, 16, v10
	v_mad_u16 v22, v56, 26, v22
	v_lshlrev_b32_e32 v20, 2, v47
	v_cndmask_b32_e64 v55, 0, 26, s0
	v_lshrrev_b32_e32 v28, 16, v11
	s_waitcnt lgkmcnt(2)
	v_lshrrev_b32_e32 v62, 16, v13
	v_and_b32_e32 v22, 0xff, v22
	global_load_dword v48, v20, s[14:15]
	v_add_nc_u32_e32 v19, v19, v55
	v_lshrrev_b32_e32 v20, 16, v2
	v_lshrrev_b32_e32 v64, 16, v14
	s_waitcnt lgkmcnt(0)
	v_lshrrev_b32_e32 v67, 16, v8
	v_lshrrev_b32_e32 v69, 16, v9
	v_lshl_add_u32 v55, v19, 2, v44
	v_mul_u32_u24_sdwa v19, v57, v66 dst_sel:DWORD dst_unused:UNUSED_PAD src0_sel:WORD_0 src1_sel:DWORD
	v_mul_u32_u24_sdwa v57, v58, v66 dst_sel:DWORD dst_unused:UNUSED_PAD src0_sel:WORD_0 src1_sel:DWORD
	;; [unrolled: 1-line block ×4, first 2 shown]
	v_lshl_add_u32 v60, v22, 2, v44
	v_add_nc_u32_sdwa v19, v19, v21 dst_sel:DWORD dst_unused:UNUSED_PAD src0_sel:DWORD src1_sel:BYTE_0
	v_add_nc_u32_sdwa v21, v57, v25 dst_sel:DWORD dst_unused:UNUSED_PAD src0_sel:DWORD src1_sel:BYTE_0
	;; [unrolled: 1-line block ×4, first 2 shown]
	v_lshrrev_b32_e32 v26, 16, v3
	v_lshl_add_u32 v56, v19, 2, v44
	v_lshl_add_u32 v57, v21, 2, v44
	v_lshl_add_u32 v58, v24, 2, v44
	v_lshl_add_u32 v59, v25, 2, v44
	v_lshrrev_b32_e32 v61, 16, v4
	v_lshrrev_b32_e32 v63, 16, v5
	v_lshrrev_b32_e32 v65, 16, v6
	v_lshrrev_b32_e32 v68, 16, v7
	s_waitcnt vmcnt(0)
	s_barrier
	buffer_gl0_inv
	v_mul_f16_sdwa v19, v23, v52 dst_sel:DWORD dst_unused:UNUSED_PAD src0_sel:DWORD src1_sel:WORD_1
	v_mul_f16_sdwa v21, v10, v52 dst_sel:DWORD dst_unused:UNUSED_PAD src0_sel:DWORD src1_sel:WORD_1
	v_fma_f16 v10, v10, v52, -v19
	v_fmac_f16_e32 v21, v23, v52
	v_sub_f16_e32 v10, v2, v10
	v_sub_f16_e32 v19, v20, v21
	v_mul_f16_sdwa v21, v28, v54 dst_sel:DWORD dst_unused:UNUSED_PAD src0_sel:DWORD src1_sel:WORD_1
	v_mul_f16_sdwa v22, v11, v54 dst_sel:DWORD dst_unused:UNUSED_PAD src0_sel:DWORD src1_sel:WORD_1
	;; [unrolled: 1-line block ×6, first 2 shown]
	v_fma_f16 v2, v2, 2.0, -v10
	v_fma_f16 v20, v20, 2.0, -v19
	v_mul_f16_sdwa v66, v67, v50 dst_sel:DWORD dst_unused:UNUSED_PAD src0_sel:DWORD src1_sel:WORD_1
	v_mul_f16_sdwa v70, v8, v50 dst_sel:DWORD dst_unused:UNUSED_PAD src0_sel:DWORD src1_sel:WORD_1
	;; [unrolled: 1-line block ×4, first 2 shown]
	v_fma_f16 v11, v11, v54, -v21
	v_fmac_f16_e32 v22, v28, v54
	v_pack_b32_f16 v10, v10, v19
	v_fma_f16 v13, v13, v53, -v23
	v_fmac_f16_e32 v24, v62, v53
	v_fma_f16 v14, v14, v51, -v25
	v_fmac_f16_e32 v27, v64, v51
	v_fma_f16 v8, v8, v50, -v66
	v_mul_f16_sdwa v21, v1, v48 dst_sel:DWORD dst_unused:UNUSED_PAD src0_sel:DWORD src1_sel:WORD_1
	v_mul_f16_sdwa v19, v17, v48 dst_sel:DWORD dst_unused:UNUSED_PAD src0_sel:DWORD src1_sel:WORD_1
	v_fmac_f16_e32 v70, v67, v50
	v_fma_f16 v9, v9, v49, -v71
	v_fmac_f16_e32 v72, v69, v49
	v_pack_b32_f16 v2, v2, v20
	v_fmac_f16_e32 v21, v17, v48
	v_sub_f16_e32 v11, v3, v11
	v_sub_f16_e32 v17, v26, v22
	v_fma_f16 v1, v1, v48, -v19
	v_sub_f16_e32 v13, v4, v13
	v_sub_f16_e32 v19, v61, v24
	;; [unrolled: 1-line block ×8, first 2 shown]
	ds_write2_b32 v55, v2, v10 offset1:13
	v_fma_f16 v2, v3, 2.0, -v11
	v_fma_f16 v3, v26, 2.0, -v17
	;; [unrolled: 1-line block ×10, first 2 shown]
	v_sub_f16_e32 v14, v0, v1
	v_sub_f16_e32 v61, v18, v21
	v_pack_b32_f16 v1, v11, v17
	v_pack_b32_f16 v2, v2, v3
	;; [unrolled: 1-line block ×10, first 2 shown]
	ds_write2_b32 v60, v2, v1 offset1:13
	ds_write2_b32 v56, v3, v11 offset1:13
	;; [unrolled: 1-line block ×5, first 2 shown]
	s_and_saveexec_b32 s0, vcc_lo
	s_cbranch_execz .LBB0_5
; %bb.4:
	v_fma_f16 v0, v0, 2.0, -v14
	v_fma_f16 v1, v18, 2.0, -v61
	v_lshl_add_u32 v2, v47, 2, v44
	v_perm_b32 v3, v61, v14, 0x5040100
	v_pack_b32_f16 v0, v0, v1
	v_add_nc_u32_e32 v1, 0x400, v2
	ds_write2_b32 v1, v0, v3 offset0:56 offset1:69
.LBB0_5:
	s_or_b32 exec_lo, exec_lo, s0
	v_mad_u64_u32 v[0:1], null, v41, 48, s[14:15]
	s_waitcnt lgkmcnt(0)
	s_barrier
	buffer_gl0_inv
	v_add_nc_u32_e32 v62, 0x400, v34
	s_add_u32 s0, s12, 0x548
	s_addc_u32 s1, s13, 0
	s_clause 0x2
	global_load_dwordx4 v[8:11], v[0:1], off offset:52
	global_load_dwordx4 v[4:7], v[0:1], off offset:68
	global_load_dwordx4 v[0:3], v[0:1], off offset:84
	ds_read2_b32 v[17:18], v34 offset1:26
	ds_read2_b32 v[27:28], v34 offset0:52 offset1:78
	ds_read2_b32 v[25:26], v34 offset0:104 offset1:130
	;; [unrolled: 1-line block ×4, first 2 shown]
	ds_read_b32 v13, v34 offset:1248
	ds_read2_b32 v[19:20], v62 offset0:4 offset1:30
	s_waitcnt lgkmcnt(6)
	v_lshrrev_b32_e32 v68, 16, v18
	s_waitcnt lgkmcnt(5)
	v_lshrrev_b32_e32 v69, 16, v27
	v_lshrrev_b32_e32 v70, 16, v28
	s_waitcnt lgkmcnt(4)
	v_lshrrev_b32_e32 v71, 16, v25
	s_waitcnt lgkmcnt(0)
	v_lshrrev_b32_e32 v79, 16, v20
	v_lshrrev_b32_e32 v75, 16, v21
	;; [unrolled: 1-line block ×8, first 2 shown]
	s_waitcnt vmcnt(2)
	v_mul_f16_sdwa v80, v68, v8 dst_sel:DWORD dst_unused:UNUSED_PAD src0_sel:DWORD src1_sel:WORD_1
	v_mul_f16_sdwa v82, v69, v9 dst_sel:DWORD dst_unused:UNUSED_PAD src0_sel:DWORD src1_sel:WORD_1
	v_mul_f16_sdwa v83, v27, v9 dst_sel:DWORD dst_unused:UNUSED_PAD src0_sel:DWORD src1_sel:WORD_1
	s_waitcnt vmcnt(0)
	v_mul_f16_sdwa v97, v79, v2 dst_sel:DWORD dst_unused:UNUSED_PAD src0_sel:DWORD src1_sel:WORD_1
	v_mul_f16_sdwa v81, v18, v8 dst_sel:DWORD dst_unused:UNUSED_PAD src0_sel:DWORD src1_sel:WORD_1
	v_fma_f16 v80, v18, v8, -v80
	v_mul_f16_sdwa v84, v70, v10 dst_sel:DWORD dst_unused:UNUSED_PAD src0_sel:DWORD src1_sel:WORD_1
	v_mul_f16_sdwa v93, v21, v7 dst_sel:DWORD dst_unused:UNUSED_PAD src0_sel:DWORD src1_sel:WORD_1
	;; [unrolled: 1-line block ×4, first 2 shown]
	v_fma_f16 v27, v27, v9, -v82
	v_fmac_f16_e32 v83, v69, v9
	v_fma_f16 v20, v20, v2, -v97
	v_add_f16_e32 v69, v17, v80
	v_mul_f16_sdwa v85, v28, v10 dst_sel:DWORD dst_unused:UNUSED_PAD src0_sel:DWORD src1_sel:WORD_1
	v_mul_f16_sdwa v86, v71, v11 dst_sel:DWORD dst_unused:UNUSED_PAD src0_sel:DWORD src1_sel:WORD_1
	;; [unrolled: 1-line block ×5, first 2 shown]
	v_fmac_f16_e32 v81, v68, v8
	v_fma_f16 v28, v28, v10, -v84
	v_fmac_f16_e32 v93, v75, v7
	v_fmac_f16_e32 v65, v77, v3
	v_add_f16_e32 v75, v27, v20
	v_sub_f16_e32 v77, v27, v20
	v_add_f16_e32 v27, v69, v27
	v_mul_f16_sdwa v87, v25, v11 dst_sel:DWORD dst_unused:UNUSED_PAD src0_sel:DWORD src1_sel:WORD_1
	v_mul_f16_sdwa v88, v72, v4 dst_sel:DWORD dst_unused:UNUSED_PAD src0_sel:DWORD src1_sel:WORD_1
	;; [unrolled: 1-line block ×6, first 2 shown]
	v_fmac_f16_e32 v85, v70, v10
	v_fma_f16 v25, v25, v11, -v86
	v_fma_f16 v22, v22, v0, -v94
	v_add_f16_sdwa v70, v17, v81 dst_sel:DWORD dst_unused:UNUSED_PAD src0_sel:WORD_1 src1_sel:DWORD
	v_add_f16_e32 v27, v27, v28
	v_mul_f16_sdwa v89, v26, v4 dst_sel:DWORD dst_unused:UNUSED_PAD src0_sel:DWORD src1_sel:WORD_1
	v_mul_f16_sdwa v63, v23, v5 dst_sel:DWORD dst_unused:UNUSED_PAD src0_sel:DWORD src1_sel:WORD_1
	;; [unrolled: 1-line block ×3, first 2 shown]
	v_fma_f16 v26, v26, v4, -v88
	v_fma_f16 v18, v23, v5, -v90
	v_fma_f16 v23, v24, v6, -v91
	v_fma_f16 v24, v19, v1, -v96
	v_fma_f16 v68, v13, v3, -v98
	v_add_f16_e32 v84, v25, v22
	v_sub_f16_e32 v88, v25, v22
	v_add_f16_e32 v69, v70, v83
	v_add_f16_e32 v25, v27, v25
	v_mul_f16_sdwa v67, v19, v1 dst_sel:DWORD dst_unused:UNUSED_PAD src0_sel:DWORD src1_sel:WORD_1
	v_fmac_f16_e32 v87, v71, v11
	v_fmac_f16_e32 v89, v72, v4
	;; [unrolled: 1-line block ×5, first 2 shown]
	v_add_f16_e32 v72, v81, v65
	v_sub_f16_e32 v73, v80, v68
	v_sub_f16_e32 v74, v81, v65
	v_add_f16_e32 v79, v28, v24
	v_sub_f16_e32 v81, v28, v24
	v_add_f16_e32 v28, v69, v85
	v_add_f16_e32 v25, v25, v26
	v_fma_f16 v21, v21, v7, -v92
	v_fmac_f16_e32 v95, v76, v0
	v_fmac_f16_e32 v67, v78, v1
	v_add_f16_e32 v71, v80, v68
	v_add_f16_e32 v76, v83, v66
	v_sub_f16_e32 v78, v83, v66
	v_mul_f16_e32 v70, 0xb770, v74
	v_mul_f16_e32 v83, 0xb770, v73
	;; [unrolled: 1-line block ×5, first 2 shown]
	v_add_f16_e32 v27, v28, v87
	v_add_f16_e32 v25, v25, v18
	;; [unrolled: 1-line block ×3, first 2 shown]
	v_sub_f16_e32 v82, v85, v67
	v_add_f16_e32 v13, v26, v21
	v_sub_f16_e32 v92, v26, v21
	v_mul_f16_e32 v98, 0xbbf1, v73
	v_mul_f16_e32 v99, 0xbb7b, v74
	;; [unrolled: 1-line block ×12, first 2 shown]
	v_fma_f16 v69, v71, 0x3b15, -v70
	v_fmamk_f16 v85, v72, 0x3b15, v83
	v_fmac_f16_e32 v70, 0x3b15, v71
	v_fma_f16 v83, v72, 0x3b15, -v83
	v_fma_f16 v141, v71, 0x388b, -v94
	v_fmamk_f16 v142, v72, 0x388b, v96
	v_fmac_f16_e32 v94, 0x388b, v71
	v_fma_f16 v96, v72, 0x388b, -v96
	v_fma_f16 v143, v71, 0x2fb7, -v97
	v_fmac_f16_e32 v97, 0x2fb7, v71
	v_add_f16_e32 v26, v27, v89
	v_add_f16_e32 v25, v25, v23
	v_sub_f16_e32 v86, v87, v95
	v_mul_f16_e32 v108, 0xb3a8, v77
	v_mul_f16_e32 v109, 0x394e, v78
	;; [unrolled: 1-line block ×12, first 2 shown]
	v_fmamk_f16 v144, v72, 0x2fb7, v98
	v_fma_f16 v98, v72, 0x2fb7, -v98
	v_fma_f16 v145, v71, 0xb5ac, -v99
	v_fmamk_f16 v146, v72, 0xb5ac, v100
	v_fmac_f16_e32 v99, 0xb5ac, v71
	v_fma_f16 v100, v72, 0xb5ac, -v100
	v_fma_f16 v147, v71, 0xb9fd, -v101
	v_fmamk_f16 v148, v72, 0xb9fd, v102
	v_fmac_f16_e32 v101, 0xb9fd, v71
	;; [unrolled: 4-line block ×5, first 2 shown]
	v_fma_f16 v106, v76, 0xb5ac, -v106
	v_fma_f16 v153, v75, 0xbbc4, -v107
	v_fmac_f16_e32 v107, 0xbbc4, v75
	v_add_f16_e32 v69, v17, v69
	v_add_f16_sdwa v85, v17, v85 dst_sel:DWORD dst_unused:UNUSED_PAD src0_sel:WORD_1 src1_sel:DWORD
	v_add_f16_e32 v70, v17, v70
	v_add_f16_sdwa v83, v17, v83 dst_sel:DWORD dst_unused:UNUSED_PAD src0_sel:WORD_1 src1_sel:DWORD
	v_add_f16_e32 v141, v17, v141
	v_add_f16_e32 v94, v17, v94
	v_add_f16_sdwa v96, v17, v96 dst_sel:DWORD dst_unused:UNUSED_PAD src0_sel:WORD_1 src1_sel:DWORD
	v_add_f16_e32 v97, v17, v97
	v_add_f16_e32 v26, v26, v63
	;; [unrolled: 1-line block ×4, first 2 shown]
	v_sub_f16_e32 v91, v89, v93
	v_mul_f16_e32 v118, 0x3b7b, v81
	v_mul_f16_e32 v119, 0x3770, v82
	;; [unrolled: 1-line block ×15, first 2 shown]
	v_fmamk_f16 v154, v76, 0xbbc4, v108
	v_fma_f16 v108, v76, 0xbbc4, -v108
	v_fma_f16 v155, v75, 0xb9fd, -v109
	v_fmamk_f16 v156, v76, 0xb9fd, v110
	v_fmac_f16_e32 v109, 0xb9fd, v75
	v_fma_f16 v110, v76, 0xb9fd, -v110
	v_fma_f16 v157, v75, 0x2fb7, -v111
	v_fmamk_f16 v158, v76, 0x2fb7, v112
	v_fmac_f16_e32 v111, 0x2fb7, v75
	;; [unrolled: 4-line block ×5, first 2 shown]
	v_fma_f16 v116, v80, 0xbbc4, -v116
	v_fma_f16 v163, v79, 0xb5ac, -v117
	v_fmac_f16_e32 v117, 0xb5ac, v79
	v_add_f16_sdwa v142, v17, v142 dst_sel:DWORD dst_unused:UNUSED_PAD src0_sel:WORD_1 src1_sel:DWORD
	v_add_f16_e32 v143, v17, v143
	v_add_f16_sdwa v144, v17, v144 dst_sel:DWORD dst_unused:UNUSED_PAD src0_sel:WORD_1 src1_sel:DWORD
	v_add_f16_sdwa v98, v17, v98 dst_sel:DWORD dst_unused:UNUSED_PAD src0_sel:WORD_1 src1_sel:DWORD
	v_add_f16_e32 v145, v17, v145
	v_add_f16_sdwa v146, v17, v146 dst_sel:DWORD dst_unused:UNUSED_PAD src0_sel:WORD_1 src1_sel:DWORD
	v_add_f16_e32 v99, v17, v99
	;; [unrolled: 2-line block ×7, first 2 shown]
	v_add_f16_e32 v69, v73, v85
	v_add_f16_e32 v70, v103, v70
	;; [unrolled: 1-line block ×10, first 2 shown]
	v_mul_f16_e32 v130, 0x3770, v88
	v_mul_f16_e32 v131, 0xbbf1, v88
	;; [unrolled: 1-line block ×9, first 2 shown]
	v_fmamk_f16 v164, v80, 0xb5ac, v118
	v_fma_f16 v118, v80, 0xb5ac, -v118
	v_fma_f16 v165, v79, 0x3b15, -v119
	v_fmamk_f16 v166, v80, 0x3b15, v120
	v_fmac_f16_e32 v119, 0x3b15, v79
	v_fma_f16 v120, v80, 0x3b15, -v120
	v_fma_f16 v167, v79, 0x388b, -v121
	v_fmamk_f16 v168, v80, 0x388b, v122
	v_fmac_f16_e32 v121, 0x388b, v79
	;; [unrolled: 4-line block ×3, first 2 shown]
	v_fma_f16 v79, v80, 0xb9fd, -v81
	v_fma_f16 v80, v84, 0xb5ac, -v123
	v_fmac_f16_e32 v123, 0xb5ac, v84
	v_fma_f16 v81, v84, 0xb9fd, -v124
	v_fmac_f16_e32 v124, 0xb9fd, v84
	;; [unrolled: 2-line block ×6, first 2 shown]
	v_fmamk_f16 v84, v90, 0xb5ac, v128
	v_fma_f16 v128, v90, 0xb5ac, -v128
	v_fmamk_f16 v175, v90, 0xb9fd, v129
	v_fma_f16 v129, v90, 0xb9fd, -v129
	v_add_f16_e32 v73, v152, v142
	v_add_f16_e32 v87, v153, v143
	v_add_f16_e32 v94, v154, v144
	v_add_f16_e32 v97, v108, v98
	v_add_f16_e32 v98, v155, v145
	v_add_f16_e32 v27, v156, v146
	v_add_f16_e32 v89, v109, v99
	v_add_f16_e32 v99, v110, v100
	v_add_f16_e32 v17, v75, v17
	v_add_f16_e32 v28, v76, v28
	v_add_f16_e32 v69, v77, v69
	v_add_f16_e32 v70, v113, v70
	v_add_f16_e32 v71, v114, v71
	v_add_f16_e32 v72, v161, v72
	v_add_f16_e32 v75, v115, v83
	v_add_f16_e32 v76, v116, v85
	v_add_f16_e32 v83, v117, v96
	v_add_f16_e32 v25, v26, v93
	v_add_f16_e32 v21, v21, v24
	v_mul_f16_e32 v138, 0xba95, v92
	v_mul_f16_e32 v139, 0x33a8, v91
	;; [unrolled: 1-line block ×3, first 2 shown]
	v_fmamk_f16 v176, v90, 0x3b15, v130
	v_fma_f16 v130, v90, 0x3b15, -v130
	v_fmamk_f16 v177, v90, 0x2fb7, v131
	v_fma_f16 v131, v90, 0x2fb7, -v131
	;; [unrolled: 2-line block ×4, first 2 shown]
	v_fma_f16 v90, v13, 0xb9fd, -v133
	v_fmamk_f16 v180, v19, 0xb9fd, v134
	v_fmac_f16_e32 v133, 0xb9fd, v13
	v_fma_f16 v134, v19, 0xb9fd, -v134
	v_fma_f16 v181, v13, 0x2fb7, -v135
	v_fmamk_f16 v182, v19, 0x2fb7, v136
	v_fmac_f16_e32 v135, 0x2fb7, v13
	v_fma_f16 v136, v19, 0x2fb7, -v136
	v_fma_f16 v183, v13, 0x388b, -v137
	v_fmac_f16_e32 v137, 0x388b, v13
	v_add_f16_e32 v100, v157, v147
	v_add_f16_e32 v74, v78, v74
	;; [unrolled: 1-line block ×20, first 2 shown]
	v_fmamk_f16 v184, v19, 0x388b, v138
	v_fma_f16 v185, v13, 0xbbc4, -v139
	v_add_f16_e32 v101, v111, v101
	v_add_f16_e32 v105, v160, v150
	;; [unrolled: 1-line block ×22, first 2 shown]
	v_fmamk_f16 v68, v19, 0xbbc4, v140
	v_mul_f16_e32 v75, 0x3770, v91
	v_fmac_f16_e32 v139, 0xbbc4, v13
	v_fma_f16 v76, v19, 0xbbc4, -v140
	v_mul_f16_e32 v79, 0xbb7b, v91
	v_fma_f16 v138, v19, 0x388b, -v138
	v_add_f16_e32 v98, v121, v101
	v_add_f16_e32 v101, v170, v105
	;; [unrolled: 1-line block ×10, first 2 shown]
	v_mul_f16_e32 v68, 0x3770, v92
	v_fma_f16 v77, v13, 0x3b15, -v75
	v_add_f16_e32 v78, v139, v82
	v_add_f16_e32 v76, v76, v83
	v_fmac_f16_e32 v75, 0x3b15, v13
	v_fma_f16 v81, v13, 0xb5ac, -v79
	v_mul_f16_e32 v82, 0xbb7b, v92
	v_sub_f16_e32 v83, v63, v64
	v_fmac_f16_e32 v79, 0xb5ac, v13
	v_sub_f16_e32 v13, v18, v23
	v_add_f16_e32 v103, v158, v148
	v_add_f16_e32 v96, v179, v101
	;; [unrolled: 1-line block ×6, first 2 shown]
	v_fmamk_f16 v80, v19, 0x3b15, v68
	v_add_f16_e32 v77, v77, v84
	v_fma_f16 v68, v19, 0x3b15, -v68
	v_fmamk_f16 v84, v19, 0xb5ac, v82
	v_add_f16_e32 v18, v18, v23
	v_mul_f16_e32 v23, 0xb3a8, v83
	v_fma_f16 v19, v19, 0xb5ac, -v82
	v_add_f16_e32 v63, v63, v64
	v_mul_f16_e32 v64, 0xb3a8, v13
	v_add_f16_e32 v97, v168, v103
	v_add_f16_e32 v82, v84, v96
	v_fma_f16 v84, v18, 0xbbc4, -v23
	v_add_f16_e32 v74, v79, v74
	v_add_f16_e32 v17, v19, v17
	v_fmamk_f16 v19, v63, 0xbbc4, v64
	v_mul_f16_e32 v79, 0x3770, v83
	v_fmac_f16_e32 v23, 0xbbc4, v18
	v_fma_f16 v64, v63, 0xbbc4, -v64
	v_add_f16_e32 v85, v178, v97
	v_add_f16_e32 v26, v84, v26
	;; [unrolled: 1-line block ×3, first 2 shown]
	v_fma_f16 v28, v18, 0x3b15, -v79
	v_mul_f16_e32 v84, 0x3770, v13
	v_add_f16_e32 v23, v23, v25
	v_add_f16_e32 v25, v64, v69
	v_mul_f16_e32 v64, 0xb94e, v83
	v_add_f16_e32 v80, v80, v85
	v_add_f16_e32 v28, v28, v70
	v_fmamk_f16 v69, v63, 0x3b15, v84
	v_fma_f16 v70, v63, 0x3b15, -v84
	v_mul_f16_e32 v85, 0xb94e, v13
	v_fmac_f16_e32 v79, 0x3b15, v18
	v_fma_f16 v84, v18, 0xb9fd, -v64
	v_add_f16_e32 v24, v69, v24
	v_add_f16_e32 v69, v70, v71
	v_fmamk_f16 v70, v63, 0xb9fd, v85
	v_mul_f16_e32 v71, 0x3a95, v83
	v_add_f16_e32 v67, v79, v67
	v_add_f16_e32 v22, v84, v22
	v_fmac_f16_e32 v64, 0xb9fd, v18
	v_fma_f16 v79, v63, 0xb9fd, -v85
	v_mul_f16_e32 v84, 0x3a95, v13
	v_add_f16_e32 v102, v112, v102
	v_add_f16_e32 v104, v159, v149
	;; [unrolled: 1-line block ×3, first 2 shown]
	v_fma_f16 v70, v18, 0x388b, -v71
	v_add_f16_e32 v64, v64, v72
	v_add_f16_e32 v65, v79, v65
	v_fmamk_f16 v72, v63, 0x388b, v84
	v_mul_f16_e32 v79, 0xbb7b, v83
	v_add_f16_e32 v99, v122, v102
	v_add_f16_e32 v100, v169, v104
	;; [unrolled: 1-line block ×4, first 2 shown]
	v_fma_f16 v73, v63, 0x388b, -v84
	v_add_f16_e32 v27, v72, v27
	v_fma_f16 v72, v18, 0xb5ac, -v79
	v_mul_f16_e32 v84, 0xbb7b, v13
	v_add_f16_e32 v89, v132, v99
	v_add_f16_e32 v94, v174, v100
	;; [unrolled: 1-line block ×3, first 2 shown]
	v_fmac_f16_e32 v71, 0x388b, v18
	v_add_f16_e32 v73, v73, v76
	v_mul_f16_e32 v76, 0x3bf1, v83
	v_fmac_f16_e32 v79, 0xb5ac, v18
	v_mul_f16_e32 v13, 0x3bf1, v13
	v_add_f16_e32 v72, v72, v77
	v_fmamk_f16 v77, v63, 0xb5ac, v84
	v_add_f16_e32 v68, v68, v89
	v_add_f16_e32 v81, v81, v94
	;; [unrolled: 1-line block ×3, first 2 shown]
	v_fma_f16 v78, v63, 0xb5ac, -v84
	v_fma_f16 v83, v18, 0x2fb7, -v76
	v_add_f16_e32 v75, v79, v75
	v_fmamk_f16 v79, v63, 0x2fb7, v13
	v_fmac_f16_e32 v76, 0x2fb7, v18
	v_fma_f16 v13, v63, 0x2fb7, -v13
	v_add_f16_e32 v77, v77, v80
	v_pack_b32_f16 v18, v20, v21
	v_pack_b32_f16 v19, v26, v19
	v_add_f16_e32 v68, v78, v68
	v_add_f16_e32 v78, v83, v81
	v_pack_b32_f16 v20, v28, v24
	v_pack_b32_f16 v21, v22, v66
	v_add_f16_e32 v22, v79, v82
	v_add_f16_e32 v24, v76, v74
	;; [unrolled: 1-line block ×3, first 2 shown]
	ds_write2_b32 v34, v18, v19 offset1:26
	ds_write2_b32 v34, v20, v21 offset0:52 offset1:78
	v_pack_b32_f16 v17, v70, v27
	v_pack_b32_f16 v18, v72, v77
	;; [unrolled: 1-line block ×9, first 2 shown]
	ds_write2_b32 v34, v17, v18 offset0:104 offset1:130
	ds_write2_b32 v34, v19, v13 offset0:156 offset1:182
	;; [unrolled: 1-line block ×4, first 2 shown]
	ds_write_b32 v34, v23 offset:1248
	s_waitcnt lgkmcnt(0)
	s_barrier
	buffer_gl0_inv
	s_clause 0xc
	global_load_dword v28, v[15:16], off offset:1352
	global_load_dword v63, v45, s[0:1] offset:104
	global_load_dword v64, v45, s[0:1] offset:208
	;; [unrolled: 1-line block ×12, first 2 shown]
	ds_read2_b32 v[15:16], v34 offset1:26
	ds_read2_b32 v[17:18], v34 offset0:52 offset1:78
	ds_read2_b32 v[20:21], v34 offset0:104 offset1:130
	;; [unrolled: 1-line block ×5, first 2 shown]
	ds_read_b32 v74, v34 offset:1248
	v_mov_b32_e32 v19, 0xba95
	v_mov_b32_e32 v13, 0x388b
	s_waitcnt lgkmcnt(6)
	v_lshrrev_b32_e32 v75, 16, v15
	v_lshrrev_b32_e32 v76, 16, v16
	s_waitcnt lgkmcnt(5)
	v_lshrrev_b32_e32 v77, 16, v17
	v_lshrrev_b32_e32 v78, 16, v18
	;; [unrolled: 3-line block ×6, first 2 shown]
	v_lshrrev_b32_e32 v86, 16, v27
	s_waitcnt vmcnt(12)
	v_mul_f16_sdwa v88, v75, v28 dst_sel:DWORD dst_unused:UNUSED_PAD src0_sel:DWORD src1_sel:WORD_1
	v_mul_f16_sdwa v89, v15, v28 dst_sel:DWORD dst_unused:UNUSED_PAD src0_sel:DWORD src1_sel:WORD_1
	s_waitcnt vmcnt(11)
	v_mul_f16_sdwa v90, v76, v63 dst_sel:DWORD dst_unused:UNUSED_PAD src0_sel:DWORD src1_sel:WORD_1
	v_mul_f16_sdwa v91, v16, v63 dst_sel:DWORD dst_unused:UNUSED_PAD src0_sel:DWORD src1_sel:WORD_1
	s_waitcnt vmcnt(10)
	v_mul_f16_sdwa v92, v77, v64 dst_sel:DWORD dst_unused:UNUSED_PAD src0_sel:DWORD src1_sel:WORD_1
	v_mul_f16_sdwa v93, v17, v64 dst_sel:DWORD dst_unused:UNUSED_PAD src0_sel:DWORD src1_sel:WORD_1
	s_waitcnt vmcnt(9)
	v_mul_f16_sdwa v94, v78, v65 dst_sel:DWORD dst_unused:UNUSED_PAD src0_sel:DWORD src1_sel:WORD_1
	v_mul_f16_sdwa v95, v18, v65 dst_sel:DWORD dst_unused:UNUSED_PAD src0_sel:DWORD src1_sel:WORD_1
	s_waitcnt vmcnt(8)
	v_mul_f16_sdwa v96, v79, v66 dst_sel:DWORD dst_unused:UNUSED_PAD src0_sel:DWORD src1_sel:WORD_1
	v_mul_f16_sdwa v97, v20, v66 dst_sel:DWORD dst_unused:UNUSED_PAD src0_sel:DWORD src1_sel:WORD_1
	s_waitcnt vmcnt(7)
	v_mul_f16_sdwa v98, v80, v67 dst_sel:DWORD dst_unused:UNUSED_PAD src0_sel:DWORD src1_sel:WORD_1
	v_mul_f16_sdwa v99, v21, v67 dst_sel:DWORD dst_unused:UNUSED_PAD src0_sel:DWORD src1_sel:WORD_1
	s_waitcnt vmcnt(6)
	v_mul_f16_sdwa v100, v81, v68 dst_sel:DWORD dst_unused:UNUSED_PAD src0_sel:DWORD src1_sel:WORD_1
	v_mul_f16_sdwa v101, v22, v68 dst_sel:DWORD dst_unused:UNUSED_PAD src0_sel:DWORD src1_sel:WORD_1
	s_waitcnt vmcnt(5)
	v_mul_f16_sdwa v102, v82, v69 dst_sel:DWORD dst_unused:UNUSED_PAD src0_sel:DWORD src1_sel:WORD_1
	v_mul_f16_sdwa v103, v23, v69 dst_sel:DWORD dst_unused:UNUSED_PAD src0_sel:DWORD src1_sel:WORD_1
	s_waitcnt vmcnt(4)
	v_mul_f16_sdwa v104, v83, v70 dst_sel:DWORD dst_unused:UNUSED_PAD src0_sel:DWORD src1_sel:WORD_1
	v_mul_f16_sdwa v105, v24, v70 dst_sel:DWORD dst_unused:UNUSED_PAD src0_sel:DWORD src1_sel:WORD_1
	s_waitcnt vmcnt(3)
	v_mul_f16_sdwa v106, v84, v71 dst_sel:DWORD dst_unused:UNUSED_PAD src0_sel:DWORD src1_sel:WORD_1
	v_mul_f16_sdwa v107, v25, v71 dst_sel:DWORD dst_unused:UNUSED_PAD src0_sel:DWORD src1_sel:WORD_1
	s_waitcnt vmcnt(0)
	v_mul_f16_sdwa v112, v87, v45 dst_sel:DWORD dst_unused:UNUSED_PAD src0_sel:DWORD src1_sel:WORD_1
	v_mul_f16_sdwa v113, v74, v45 dst_sel:DWORD dst_unused:UNUSED_PAD src0_sel:DWORD src1_sel:WORD_1
	v_mul_f16_sdwa v108, v85, v72 dst_sel:DWORD dst_unused:UNUSED_PAD src0_sel:DWORD src1_sel:WORD_1
	v_mul_f16_sdwa v109, v26, v72 dst_sel:DWORD dst_unused:UNUSED_PAD src0_sel:DWORD src1_sel:WORD_1
	;; [unrolled: 1-line block ×4, first 2 shown]
	v_fma_f16 v15, v15, v28, -v88
	v_fmac_f16_e32 v89, v75, v28
	v_fma_f16 v16, v16, v63, -v90
	v_fmac_f16_e32 v91, v76, v63
	v_fma_f16 v17, v17, v64, -v92
	v_fmac_f16_e32 v93, v77, v64
	v_fma_f16 v18, v18, v65, -v94
	v_fmac_f16_e32 v95, v78, v65
	v_fma_f16 v20, v20, v66, -v96
	v_fmac_f16_e32 v97, v79, v66
	v_fma_f16 v21, v21, v67, -v98
	v_fmac_f16_e32 v99, v80, v67
	v_fma_f16 v22, v22, v68, -v100
	v_fmac_f16_e32 v101, v81, v68
	v_fma_f16 v23, v23, v69, -v102
	v_fmac_f16_e32 v103, v82, v69
	v_fma_f16 v24, v24, v70, -v104
	v_fmac_f16_e32 v105, v83, v70
	v_fma_f16 v25, v25, v71, -v106
	v_fmac_f16_e32 v107, v84, v71
	v_fma_f16 v28, v74, v45, -v112
	v_fmac_f16_e32 v113, v87, v45
	v_fma_f16 v26, v26, v72, -v108
	v_fmac_f16_e32 v109, v85, v72
	v_fma_f16 v27, v27, v73, -v110
	v_fmac_f16_e32 v111, v86, v73
	v_pack_b32_f16 v15, v15, v89
	v_pack_b32_f16 v16, v16, v91
	;; [unrolled: 1-line block ×13, first 2 shown]
	ds_write2_b32 v34, v15, v16 offset1:26
	ds_write2_b32 v34, v17, v18 offset0:52 offset1:78
	ds_write2_b32 v34, v20, v21 offset0:104 offset1:130
	;; [unrolled: 1-line block ×5, first 2 shown]
	ds_write_b32 v34, v28 offset:1248
	s_waitcnt lgkmcnt(0)
	s_barrier
	buffer_gl0_inv
	ds_read2_b32 v[15:16], v34 offset1:26
	ds_read_b32 v28, v34 offset:1248
	ds_read2_b32 v[20:21], v34 offset0:52 offset1:78
	ds_read2_b32 v[22:23], v62 offset0:4 offset1:30
	;; [unrolled: 1-line block ×5, first 2 shown]
	v_mov_b32_e32 v45, 0xbbf1
	v_mov_b32_e32 v65, 0x2fb7
	;; [unrolled: 1-line block ×13, first 2 shown]
	s_waitcnt lgkmcnt(0)
	v_pk_add_f16 v75, v15, v16
	v_pk_add_f16 v76, v28, v16
	v_pk_add_f16 v16, v16, v28 neg_lo:[0,1] neg_hi:[0,1]
	v_pk_add_f16 v77, v23, v20
	v_pk_add_f16 v78, v20, v23 neg_lo:[0,1] neg_hi:[0,1]
	v_pk_add_f16 v20, v75, v20
	v_mul_f16_sdwa v84, v76, v13 dst_sel:DWORD dst_unused:UNUSED_PAD src0_sel:WORD_1 src1_sel:DWORD
	v_mul_f16_sdwa v83, v16, v19 dst_sel:DWORD dst_unused:UNUSED_PAD src0_sel:WORD_1 src1_sel:DWORD
	v_pk_add_f16 v79, v22, v21
	v_pk_add_f16 v80, v21, v22 neg_lo:[0,1] neg_hi:[0,1]
	v_pk_add_f16 v20, v20, v21
	v_mul_f16_sdwa v85, v16, v45 dst_sel:DWORD dst_unused:UNUSED_PAD src0_sel:WORD_1 src1_sel:DWORD
	v_mul_f16_sdwa v86, v76, v65 dst_sel:DWORD dst_unused:UNUSED_PAD src0_sel:WORD_1 src1_sel:DWORD
	;; [unrolled: 1-line block ×4, first 2 shown]
	v_pk_add_f16 v20, v20, v24
	v_fmamk_f16 v111, v76, 0x388b, v83
	v_fmamk_f16 v112, v16, 0x3a95, v84
	v_fma_f16 v83, v76, 0x388b, -v83
	v_fmac_f16_e32 v84, 0xba95, v16
	v_pk_add_f16 v20, v20, v25
	v_pk_add_f16 v81, v27, v24
	v_pk_add_f16 v82, v24, v27 neg_lo:[0,1] neg_hi:[0,1]
	v_mul_f16_sdwa v87, v16, v18 dst_sel:DWORD dst_unused:UNUSED_PAD src0_sel:WORD_1 src1_sel:DWORD
	v_mul_f16_sdwa v88, v76, v17 dst_sel:DWORD dst_unused:UNUSED_PAD src0_sel:WORD_1 src1_sel:DWORD
	v_pk_add_f16 v20, v20, v63
	v_mul_f16_sdwa v89, v16, v66 dst_sel:DWORD dst_unused:UNUSED_PAD src0_sel:WORD_1 src1_sel:DWORD
	v_mul_f16_sdwa v90, v76, v67 dst_sel:DWORD dst_unused:UNUSED_PAD src0_sel:WORD_1 src1_sel:DWORD
	;; [unrolled: 1-line block ×4, first 2 shown]
	v_pk_add_f16 v20, v20, v64
	v_mul_f16_sdwa v68, v80, v68 dst_sel:DWORD dst_unused:UNUSED_PAD src0_sel:WORD_1 src1_sel:DWORD
	v_mul_f16_sdwa v101, v79, v69 dst_sel:DWORD dst_unused:UNUSED_PAD src0_sel:WORD_1 src1_sel:DWORD
	v_fmamk_f16 v113, v76, 0x2fb7, v85
	v_fmamk_f16 v114, v16, 0x3bf1, v86
	v_pk_add_f16 v20, v20, v26
	v_fmamk_f16 v120, v77, 0xb5ac, v92
	v_fmamk_f16 v121, v78, 0x3b7b, v93
	v_fma_f16 v92, v77, 0xb5ac, -v92
	v_fmac_f16_e32 v93, 0xbb7b, v78
	v_add_f16_e32 v83, v15, v83
	v_add_f16_sdwa v84, v15, v84 dst_sel:DWORD dst_unused:UNUSED_PAD src0_sel:WORD_1 src1_sel:DWORD
	v_pk_add_f16 v20, v20, v27
	v_mul_f16_sdwa v96, v78, v70 dst_sel:DWORD dst_unused:UNUSED_PAD src0_sel:WORD_1 src1_sel:DWORD
	v_mul_f16_sdwa v97, v77, v67 dst_sel:DWORD dst_unused:UNUSED_PAD src0_sel:WORD_1 src1_sel:DWORD
	;; [unrolled: 1-line block ×8, first 2 shown]
	v_fma_f16 v85, v76, 0x2fb7, -v85
	v_fmac_f16_e32 v86, 0xbbf1, v16
	v_fmamk_f16 v115, v76, 0xb5ac, v87
	v_fmamk_f16 v116, v16, 0x3b7b, v88
	v_fma_f16 v87, v76, 0xb5ac, -v87
	v_fmac_f16_e32 v88, 0xbb7b, v16
	v_fmamk_f16 v117, v76, 0xb9fd, v89
	v_fmamk_f16 v118, v16, 0x394e, v90
	;; [unrolled: 1-line block ×6, first 2 shown]
	v_fma_f16 v68, v79, 0xbbc4, -v68
	v_fmac_f16_e32 v101, 0xb3a8, v80
	v_add_f16_e32 v113, v15, v113
	v_add_f16_sdwa v114, v15, v114 dst_sel:DWORD dst_unused:UNUSED_PAD src0_sel:WORD_1 src1_sel:DWORD
	v_add_f16_e32 v83, v92, v83
	v_add_f16_e32 v84, v93, v84
	v_pk_add_f16 v20, v20, v22
	v_pk_mul_f16 v75, 0xb770, v16 op_sel_hi:[0,1]
	v_mul_f16_sdwa v103, v80, v73 dst_sel:DWORD dst_unused:UNUSED_PAD src0_sel:WORD_1 src1_sel:DWORD
	v_mul_f16_sdwa v104, v79, v74 dst_sel:DWORD dst_unused:UNUSED_PAD src0_sel:WORD_1 src1_sel:DWORD
	;; [unrolled: 1-line block ×6, first 2 shown]
	v_fma_f16 v94, v77, 0xbbc4, -v94
	v_fmac_f16_e32 v95, 0xb3a8, v78
	v_fmamk_f16 v124, v77, 0xb9fd, v96
	v_fmamk_f16 v125, v78, 0xb94e, v97
	v_fma_f16 v96, v77, 0xb9fd, -v96
	v_fmac_f16_e32 v97, 0x394e, v78
	v_fmamk_f16 v126, v77, 0x2fb7, v98
	v_fmamk_f16 v127, v78, 0xbbf1, v99
	;; [unrolled: 1-line block ×6, first 2 shown]
	v_fma_f16 v70, v81, 0xb9fd, -v70
	v_fmac_f16_e32 v108, 0x394e, v82
	v_add_f16_e32 v85, v15, v85
	v_add_f16_sdwa v86, v15, v86 dst_sel:DWORD dst_unused:UNUSED_PAD src0_sel:WORD_1 src1_sel:DWORD
	v_add_f16_e32 v115, v15, v115
	v_add_f16_sdwa v116, v15, v116 dst_sel:DWORD dst_unused:UNUSED_PAD src0_sel:WORD_1 src1_sel:DWORD
	;; [unrolled: 2-line block ×4, first 2 shown]
	v_add_f16_e32 v92, v122, v113
	v_add_f16_e32 v93, v123, v114
	;; [unrolled: 1-line block ×4, first 2 shown]
	v_pk_add_f16 v20, v20, v23
	v_pk_mul_f16 v91, 0xba95, v78 op_sel_hi:[0,1]
	v_pk_fma_f16 v21, 0x3b15, v76, v75 op_sel:[0,0,1] op_sel_hi:[0,1,0]
	v_pk_fma_f16 v75, 0x3b15, v76, v75 op_sel:[0,0,1] op_sel_hi:[0,1,0] neg_lo:[0,0,1] neg_hi:[0,0,1]
	v_fma_f16 v89, v76, 0xb9fd, -v89
	v_fmac_f16_e32 v90, 0xb94e, v16
	v_fma_f16 v72, v79, 0xb5ac, -v72
	v_fmac_f16_e32 v102, 0x3b7b, v80
	v_fmamk_f16 v133, v79, 0x3b15, v103
	v_fmamk_f16 v134, v80, 0xb770, v104
	v_fmac_f16_e32 v104, 0x3770, v80
	v_fmamk_f16 v135, v79, 0x388b, v105
	v_fmamk_f16 v136, v80, 0x3a95, v106
	;; [unrolled: 1-line block ×4, first 2 shown]
	v_add_f16_e32 v111, v15, v111
	v_add_f16_e32 v85, v94, v85
	v_add_f16_e32 v86, v95, v86
	v_add_f16_e32 v94, v124, v115
	v_add_f16_e32 v95, v125, v116
	v_add_f16_e32 v87, v96, v87
	v_add_f16_e32 v88, v97, v88
	v_add_f16_e32 v96, v126, v117
	v_add_f16_e32 v97, v127, v118
	v_add_f16_e32 v84, v131, v92
	v_add_f16_e32 v92, v132, v93
	v_add_f16_e32 v23, v70, v68
	v_add_f16_e32 v68, v108, v83
	v_pk_add_f16 v20, v20, v28
	v_mul_f16_sdwa v28, v82, v45 dst_sel:DWORD dst_unused:UNUSED_PAD src0_sel:WORD_1 src1_sel:DWORD
	v_mul_f16_sdwa v83, v81, v65 dst_sel:DWORD dst_unused:UNUSED_PAD src0_sel:WORD_1 src1_sel:DWORD
	v_pk_mul_f16 v100, 0xbbf1, v80 op_sel_hi:[0,1]
	v_pk_fma_f16 v119, 0x388b, v77, v91 op_sel:[0,0,1] op_sel_hi:[0,1,0]
	v_pk_fma_f16 v91, 0x388b, v77, v91 op_sel:[0,0,1] op_sel_hi:[0,1,0] neg_lo:[0,0,1] neg_hi:[0,0,1]
	v_fma_f16 v98, v77, 0x2fb7, -v98
	v_fmac_f16_e32 v99, 0x3bf1, v78
	v_bfi_b32 v24, 0xffff, v21, v75
	v_add_f16_e32 v89, v15, v89
	v_add_f16_sdwa v90, v15, v90 dst_sel:DWORD dst_unused:UNUSED_PAD src0_sel:WORD_1 src1_sel:DWORD
	v_add_f16_e32 v111, v120, v111
	v_add_f16_e32 v72, v72, v85
	;; [unrolled: 1-line block ×10, first 2 shown]
	v_fma_f16 v84, v81, 0x3b15, -v109
	v_fmac_f16_e32 v110, 0x3770, v82
	v_fmamk_f16 v92, v81, 0x2fb7, v28
	v_mov_b32_e32 v96, 0x33a8
	v_fmamk_f16 v97, v82, 0x3bf1, v83
	v_pk_mul_f16 v107, 0xbb7b, v82 op_sel_hi:[0,1]
	v_pk_fma_f16 v128, 0x2fb7, v79, v100 op_sel:[0,0,1] op_sel_hi:[0,1,0]
	v_pk_fma_f16 v100, 0x2fb7, v79, v100 op_sel:[0,0,1] op_sel_hi:[0,1,0] neg_lo:[0,0,1] neg_hi:[0,0,1]
	v_fma_f16 v103, v79, 0x3b15, -v103
	v_fmac_f16_e32 v106, 0xba95, v80
	v_bfi_b32 v142, 0xffff, v119, v91
	v_pk_add_f16 v24, v15, v24
	v_add_f16_e32 v89, v98, v89
	v_add_f16_e32 v90, v99, v90
	;; [unrolled: 1-line block ×6, first 2 shown]
	v_mul_f16_sdwa v86, v82, v96 dst_sel:DWORD dst_unused:UNUSED_PAD src0_sel:WORD_1 src1_sel:DWORD
	v_add_f16_e32 v92, v97, v93
	v_pk_add_f16 v93, v25, v26 neg_lo:[0,1] neg_hi:[0,1]
	v_fma_f16 v105, v79, 0x388b, -v105
	v_pk_fma_f16 v137, 0xb5ac, v81, v107 op_sel:[0,0,1] op_sel_hi:[0,1,0]
	v_pk_fma_f16 v107, 0xb5ac, v81, v107 op_sel:[0,0,1] op_sel_hi:[0,1,0] neg_lo:[0,0,1] neg_hi:[0,0,1]
	v_bfi_b32 v143, 0xffff, v128, v100
	v_pk_add_f16 v24, v142, v24
	v_add_f16_e32 v87, v103, v87
	v_add_f16_e32 v22, v106, v90
	;; [unrolled: 1-line block ×3, first 2 shown]
	v_fma_f16 v28, v81, 0x2fb7, -v28
	v_fmac_f16_e32 v83, 0xbbf1, v82
	v_fmamk_f16 v97, v81, 0xbbc4, v86
	v_mul_f16_sdwa v98, v81, v69 dst_sel:DWORD dst_unused:UNUSED_PAD src0_sel:WORD_1 src1_sel:DWORD
	v_pk_add_f16 v25, v26, v25
	v_pk_mul_f16 v26, 0xb94e, v93 op_sel_hi:[0,1]
	v_add_f16_sdwa v112, v15, v112 dst_sel:DWORD dst_unused:UNUSED_PAD src0_sel:WORD_1 src1_sel:DWORD
	v_bfi_b32 v144, 0xffff, v137, v107
	v_add_f16_e32 v89, v105, v89
	v_pk_add_f16 v24, v143, v24
	v_add_f16_e32 v28, v28, v87
	v_add_f16_e32 v27, v83, v27
	v_fmamk_f16 v83, v82, 0xb3a8, v98
	v_add_f16_e32 v87, v97, v88
	v_pk_fma_f16 v88, 0xb9fd, v25, v26 op_sel:[0,0,1] op_sel_hi:[0,1,0]
	v_pk_fma_f16 v26, 0xb9fd, v25, v26 op_sel:[0,0,1] op_sel_hi:[0,1,0] neg_lo:[0,0,1] neg_hi:[0,0,1]
	v_fma_f16 v86, v81, 0xbbc4, -v86
	v_mul_f16_sdwa v71, v93, v71 dst_sel:DWORD dst_unused:UNUSED_PAD src0_sel:WORD_1 src1_sel:DWORD
	v_add_f16_e32 v112, v121, v112
	v_pk_add_f16 v24, v144, v24
	v_add_f16_e32 v83, v83, v94
	v_bfi_b32 v94, 0xffff, v88, v26
	v_add_f16_e32 v86, v86, v89
	v_mul_f16_sdwa v65, v25, v65 dst_sel:DWORD dst_unused:UNUSED_PAD src0_sel:WORD_1 src1_sel:DWORD
	v_fmamk_f16 v89, v25, 0x2fb7, v71
	v_mul_f16_sdwa v19, v93, v19 dst_sel:DWORD dst_unused:UNUSED_PAD src0_sel:WORD_1 src1_sel:DWORD
	v_fma_f16 v71, v25, 0x2fb7, -v71
	v_add_f16_e32 v99, v130, v112
	v_pk_add_f16 v24, v94, v24
	v_fmamk_f16 v94, v93, 0xbbf1, v65
	v_add_f16_e32 v89, v89, v90
	v_fmac_f16_e32 v65, 0x3bf1, v93
	v_fmamk_f16 v90, v25, 0x388b, v19
	v_add_f16_e32 v23, v71, v23
	v_mul_f16_sdwa v71, v25, v13 dst_sel:DWORD dst_unused:UNUSED_PAD src0_sel:WORD_1 src1_sel:DWORD
	v_mul_f16_sdwa v69, v25, v69 dst_sel:DWORD dst_unused:UNUSED_PAD src0_sel:WORD_1 src1_sel:DWORD
	v_add_f16_e32 v95, v139, v99
	v_add_f16_e32 v65, v65, v68
	;; [unrolled: 1-line block ×3, first 2 shown]
	v_mul_f16_sdwa v70, v93, v96 dst_sel:DWORD dst_unused:UNUSED_PAD src0_sel:WORD_1 src1_sel:DWORD
	v_fmamk_f16 v90, v93, 0x3a95, v71
	v_fmac_f16_e32 v71, 0xba95, v93
	v_fmamk_f16 v96, v93, 0xb3a8, v69
	v_add_f16_e32 v94, v94, v95
	v_fma_f16 v19, v25, 0x388b, -v19
	v_fmamk_f16 v95, v25, 0xbbc4, v70
	v_add_f16_e32 v45, v90, v45
	v_add_f16_e32 v71, v71, v84
	;; [unrolled: 1-line block ×3, first 2 shown]
	v_mul_f16_sdwa v90, v25, v74 dst_sel:DWORD dst_unused:UNUSED_PAD src0_sel:WORD_1 src1_sel:DWORD
	v_pk_add_f16 v92, v63, v64 neg_lo:[0,1] neg_hi:[0,1]
	v_add_f16_e32 v19, v19, v72
	v_add_f16_e32 v72, v95, v85
	v_mul_f16_sdwa v85, v93, v73 dst_sel:DWORD dst_unused:UNUSED_PAD src0_sel:WORD_1 src1_sel:DWORD
	v_fma_f16 v70, v25, 0xbbc4, -v70
	v_fmamk_f16 v96, v93, 0xb770, v90
	v_pk_add_f16 v63, v64, v63
	v_pk_mul_f16 v64, 0xb3a8, v92 op_sel_hi:[0,1]
	v_fmac_f16_e32 v69, 0x33a8, v93
	v_fmamk_f16 v95, v25, 0x3b15, v85
	v_add_f16_e32 v28, v70, v28
	v_add_f16_e32 v70, v96, v83
	v_pk_fma_f16 v83, 0xbbc4, v63, v64 op_sel:[0,0,1] op_sel_hi:[0,1,0]
	v_pk_fma_f16 v64, 0xbbc4, v63, v64 op_sel:[0,0,1] op_sel_hi:[0,1,0] neg_lo:[0,0,1] neg_hi:[0,0,1]
	v_mul_f16_sdwa v73, v92, v73 dst_sel:DWORD dst_unused:UNUSED_PAD src0_sel:WORD_1 src1_sel:DWORD
	v_add_f16_e32 v27, v69, v27
	v_add_f16_e32 v69, v95, v87
	v_fmac_f16_e32 v98, 0x33a8, v82
	v_bfi_b32 v87, 0xffff, v83, v64
	v_fmamk_f16 v95, v63, 0x3b15, v73
	v_fma_f16 v85, v25, 0x3b15, -v85
	v_mul_f16_sdwa v74, v63, v74 dst_sel:DWORD dst_unused:UNUSED_PAD src0_sel:WORD_1 src1_sel:DWORD
	v_fma_f16 v73, v63, 0x3b15, -v73
	v_pk_add_f16 v24, v87, v24
	v_add_f16_e32 v87, v95, v89
	v_mov_b32_e32 v89, 0x3a95
	v_add_f16_e32 v22, v98, v22
	v_fmac_f16_e32 v90, 0x3770, v93
	v_add_f16_e32 v85, v85, v86
	v_fmamk_f16 v86, v92, 0xb770, v74
	v_mul_f16_sdwa v66, v92, v66 dst_sel:DWORD dst_unused:UNUSED_PAD src0_sel:WORD_1 src1_sel:DWORD
	v_fmac_f16_e32 v74, 0x3770, v92
	v_mul_f16_sdwa v67, v63, v67 dst_sel:DWORD dst_unused:UNUSED_PAD src0_sel:WORD_1 src1_sel:DWORD
	v_add_f16_e32 v23, v73, v23
	v_mul_f16_sdwa v73, v92, v89 dst_sel:DWORD dst_unused:UNUSED_PAD src0_sel:WORD_1 src1_sel:DWORD
	v_add_f16_e32 v22, v90, v22
	v_fmamk_f16 v90, v63, 0xb9fd, v66
	v_add_f16_e32 v65, v74, v65
	v_fmamk_f16 v74, v92, 0x394e, v67
	v_fma_f16 v66, v63, 0xb9fd, -v66
	v_fmac_f16_e32 v67, 0xb94e, v92
	v_fmamk_f16 v89, v63, 0x388b, v73
	v_mul_f16_sdwa v13, v63, v13 dst_sel:DWORD dst_unused:UNUSED_PAD src0_sel:WORD_1 src1_sel:DWORD
	v_mul_f16_sdwa v18, v92, v18 dst_sel:DWORD dst_unused:UNUSED_PAD src0_sel:WORD_1 src1_sel:DWORD
	v_add_f16_e32 v19, v66, v19
	v_add_f16_e32 v66, v67, v71
	;; [unrolled: 1-line block ×3, first 2 shown]
	v_fma_f16 v72, v63, 0x388b, -v73
	v_fmamk_f16 v71, v92, 0xba95, v13
	v_fmac_f16_e32 v13, 0x3a95, v92
	v_mul_f16_sdwa v17, v63, v17 dst_sel:DWORD dst_unused:UNUSED_PAD src0_sel:WORD_1 src1_sel:DWORD
	s_barrier
	v_add_f16_e32 v28, v72, v28
	v_fmamk_f16 v72, v63, 0xb5ac, v18
	v_add_f16_e32 v13, v13, v27
	v_fmamk_f16 v27, v92, 0x3b7b, v17
	v_fmac_f16_e32 v17, 0xbb7b, v92
	buffer_gl0_inv
	v_add_f16_e32 v69, v72, v69
	v_pk_mul_f16 v72, 0xbbc4, v76 op_sel_hi:[0,1]
	ds_write2_b32 v46, v20, v24 offset1:1
	v_add_f16_e32 v17, v17, v22
	v_pk_mul_f16 v20, 0x3b15, v77 op_sel_hi:[0,1]
	v_add_f16_e32 v27, v27, v70
	v_pk_fma_f16 v22, 0xb3a8, v16, v72 op_sel:[0,0,1] op_sel_hi:[0,1,0]
	v_pk_fma_f16 v16, 0xb3a8, v16, v72 op_sel:[0,0,1] op_sel_hi:[0,1,0] neg_lo:[0,1,0] neg_hi:[0,1,0]
	v_pk_mul_f16 v72, 0xb9fd, v79 op_sel_hi:[0,1]
	v_pk_fma_f16 v70, 0x3770, v78, v20 op_sel:[0,0,1] op_sel_hi:[0,1,0]
	v_alignbit_b32 v73, s0, v15, 16
	v_alignbit_b32 v24, s0, v22, 16
	v_add_f16_e32 v45, v74, v45
	v_pk_add_f16 v16, v15, v16 op_sel:[1,0] op_sel_hi:[0,1]
	v_alignbit_b32 v74, s0, v70, 16
	v_pk_fma_f16 v20, 0x3770, v78, v20 op_sel:[0,0,1] op_sel_hi:[0,1,0] neg_lo:[0,1,0] neg_hi:[0,1,0]
	v_pk_add_f16 v24, v15, v24
	v_pk_fma_f16 v76, 0xb94e, v80, v72 op_sel:[0,0,1] op_sel_hi:[0,1,0]
	v_pk_add_f16 v22, v73, v22
	v_pk_mul_f16 v73, 0x388b, v81 op_sel_hi:[0,1]
	v_pk_add_f16 v16, v20, v16
	v_pk_add_f16 v24, v74, v24
	v_alignbit_b32 v20, s0, v76, 16
	v_pk_fma_f16 v72, 0xb94e, v80, v72 op_sel:[0,0,1] op_sel_hi:[0,1,0] neg_lo:[0,1,0] neg_hi:[0,1,0]
	v_pk_fma_f16 v74, 0x3a95, v82, v73 op_sel:[0,0,1] op_sel_hi:[0,1,0]
	v_pk_mul_f16 v25, 0xb5ac, v25 op_sel_hi:[0,1]
	v_pk_add_f16 v22, v70, v22
	v_pk_add_f16 v20, v20, v24
	;; [unrolled: 1-line block ×3, first 2 shown]
	v_alignbit_b32 v24, s0, v74, 16
	v_pk_fma_f16 v72, 0xbb7b, v93, v25 op_sel:[0,0,1] op_sel_hi:[0,1,0]
	v_bfi_b32 v21, 0xffff, v75, v21
	v_fma_f16 v18, v63, 0xb5ac, -v18
	v_pk_fma_f16 v70, 0x3a95, v82, v73 op_sel:[0,0,1] op_sel_hi:[0,1,0] neg_lo:[0,1,0] neg_hi:[0,1,0]
	v_pk_add_f16 v22, v76, v22
	v_pk_add_f16 v20, v24, v20
	v_alignbit_b32 v24, s0, v72, 16
	v_pk_mul_f16 v63, 0x2fb7, v63 op_sel_hi:[0,1]
	v_pk_add_f16 v15, v15, v21
	v_bfi_b32 v21, 0xffff, v91, v119
	v_pk_add_f16 v16, v70, v16
	v_pk_add_f16 v22, v74, v22
	v_pk_fma_f16 v25, 0xbb7b, v93, v25 op_sel:[0,0,1] op_sel_hi:[0,1,0] neg_lo:[0,1,0] neg_hi:[0,1,0]
	v_pk_add_f16 v20, v24, v20
	v_pk_fma_f16 v24, 0x3bf1, v92, v63 op_sel:[0,0,1] op_sel_hi:[0,1,0]
	v_pk_add_f16 v15, v21, v15
	v_bfi_b32 v21, 0xffff, v100, v128
	v_pk_add_f16 v16, v25, v16
	v_pk_add_f16 v22, v72, v22
	v_alignbit_b32 v25, s0, v24, 16
	v_pk_fma_f16 v63, 0x3bf1, v92, v63 op_sel:[0,0,1] op_sel_hi:[0,1,0] neg_lo:[0,1,0] neg_hi:[0,1,0]
	v_pk_add_f16 v15, v21, v15
	v_bfi_b32 v21, 0xffff, v107, v137
	v_pk_add_f16 v22, v24, v22
	v_pk_add_f16 v20, v25, v20
	;; [unrolled: 1-line block ×3, first 2 shown]
	v_add_f16_e32 v86, v86, v94
	v_pk_add_f16 v15, v21, v15
	v_bfi_b32 v21, 0xffff, v26, v88
	v_add_f16_e32 v68, v90, v68
	v_add_f16_e32 v71, v71, v84
	;; [unrolled: 1-line block ×3, first 2 shown]
	v_alignbit_b32 v22, v22, v16, 16
	v_pack_b32_f16 v16, v20, v16
	v_pk_add_f16 v15, v21, v15
	v_bfi_b32 v20, 0xffff, v64, v83
	v_pack_b32_f16 v45, v68, v45
	v_pack_b32_f16 v68, v87, v86
	;; [unrolled: 1-line block ×8, first 2 shown]
	v_pk_add_f16 v13, v20, v15
	ds_write2_b32 v46, v68, v45 offset0:2 offset1:3
	ds_write2_b32 v46, v25, v24 offset0:4 offset1:5
	;; [unrolled: 1-line block ×5, first 2 shown]
	ds_write_b32 v46, v13 offset:48
	s_waitcnt lgkmcnt(0)
	s_barrier
	buffer_gl0_inv
	ds_read2_b32 v[19:20], v34 offset1:26
	ds_read2_b32 v[25:26], v34 offset0:169 offset1:195
	ds_read2_b32 v[17:18], v34 offset0:52 offset1:78
	;; [unrolled: 1-line block ×5, first 2 shown]
	v_lshrrev_b32_e32 v27, 16, v13
	s_and_saveexec_b32 s0, vcc_lo
	s_cbranch_execz .LBB0_7
; %bb.6:
	v_add_nc_u32_e32 v13, 0x200, v34
	ds_read2_b32 v[13:14], v13 offset0:28 offset1:197
	s_waitcnt lgkmcnt(0)
	v_lshrrev_b32_e32 v27, 16, v13
	v_lshrrev_b32_e32 v61, 16, v14
.LBB0_7:
	s_or_b32 exec_lo, exec_lo, s0
	s_waitcnt lgkmcnt(4)
	v_lshrrev_b32_e32 v45, 16, v25
	v_lshrrev_b32_e32 v62, 16, v26
	s_waitcnt lgkmcnt(2)
	v_lshrrev_b32_e32 v64, 16, v23
	v_mul_f16_sdwa v71, v52, v25 dst_sel:DWORD dst_unused:UNUSED_PAD src0_sel:WORD_1 src1_sel:DWORD
	v_lshrrev_b32_e32 v66, 16, v24
	v_mul_f16_sdwa v69, v52, v45 dst_sel:DWORD dst_unused:UNUSED_PAD src0_sel:WORD_1 src1_sel:DWORD
	v_mul_f16_sdwa v72, v54, v62 dst_sel:DWORD dst_unused:UNUSED_PAD src0_sel:WORD_1 src1_sel:DWORD
	s_waitcnt lgkmcnt(0)
	v_lshrrev_b32_e32 v68, 16, v21
	v_fma_f16 v45, v52, v45, -v71
	v_lshrrev_b32_e32 v73, 16, v22
	v_fmac_f16_e32 v69, v52, v25
	v_mul_f16_sdwa v25, v54, v26 dst_sel:DWORD dst_unused:UNUSED_PAD src0_sel:WORD_1 src1_sel:DWORD
	v_fmac_f16_e32 v72, v54, v26
	v_mul_f16_sdwa v26, v53, v64 dst_sel:DWORD dst_unused:UNUSED_PAD src0_sel:WORD_1 src1_sel:DWORD
	v_mul_f16_sdwa v52, v53, v23 dst_sel:DWORD dst_unused:UNUSED_PAD src0_sel:WORD_1 src1_sel:DWORD
	v_lshrrev_b32_e32 v28, 16, v19
	v_fma_f16 v25, v54, v62, -v25
	v_mul_f16_sdwa v54, v51, v66 dst_sel:DWORD dst_unused:UNUSED_PAD src0_sel:WORD_1 src1_sel:DWORD
	v_mul_f16_sdwa v62, v51, v24 dst_sel:DWORD dst_unused:UNUSED_PAD src0_sel:WORD_1 src1_sel:DWORD
	v_fmac_f16_e32 v26, v53, v23
	v_fma_f16 v23, v53, v64, -v52
	v_mul_f16_sdwa v52, v50, v68 dst_sel:DWORD dst_unused:UNUSED_PAD src0_sel:WORD_1 src1_sel:DWORD
	v_mul_f16_sdwa v53, v49, v73 dst_sel:DWORD dst_unused:UNUSED_PAD src0_sel:WORD_1 src1_sel:DWORD
	v_fmac_f16_e32 v54, v51, v24
	v_fma_f16 v24, v51, v66, -v62
	v_mul_f16_sdwa v51, v50, v21 dst_sel:DWORD dst_unused:UNUSED_PAD src0_sel:WORD_1 src1_sel:DWORD
	v_fmac_f16_e32 v52, v50, v21
	v_mul_f16_sdwa v21, v49, v22 dst_sel:DWORD dst_unused:UNUSED_PAD src0_sel:WORD_1 src1_sel:DWORD
	v_lshrrev_b32_e32 v46, 16, v20
	v_sub_f16_e32 v62, v19, v69
	v_fmac_f16_e32 v53, v49, v22
	v_sub_f16_e32 v22, v28, v45
	v_lshrrev_b32_e32 v63, 16, v17
	v_lshrrev_b32_e32 v65, 16, v18
	;; [unrolled: 1-line block ×3, first 2 shown]
	v_fma_f16 v50, v50, v68, -v51
	v_lshrrev_b32_e32 v70, 16, v16
	v_fma_f16 v21, v49, v73, -v21
	v_fma_f16 v19, v19, 2.0, -v62
	v_sub_f16_e32 v45, v20, v72
	v_sub_f16_e32 v25, v46, v25
	v_fma_f16 v28, v28, 2.0, -v22
	v_sub_f16_e32 v26, v17, v26
	v_sub_f16_e32 v23, v63, v23
	;; [unrolled: 1-line block ×8, first 2 shown]
	v_fma_f16 v20, v20, 2.0, -v45
	v_fma_f16 v46, v46, 2.0, -v25
	v_pack_b32_f16 v19, v19, v28
	v_pack_b32_f16 v22, v62, v22
	v_fma_f16 v17, v17, 2.0, -v26
	v_fma_f16 v51, v63, 2.0, -v23
	;; [unrolled: 1-line block ×8, first 2 shown]
	s_barrier
	buffer_gl0_inv
	ds_write2_b32 v55, v19, v22 offset1:13
	v_pack_b32_f16 v19, v20, v46
	v_pack_b32_f16 v20, v45, v25
	;; [unrolled: 1-line block ×10, first 2 shown]
	ds_write2_b32 v60, v19, v20 offset1:13
	ds_write2_b32 v56, v17, v22 offset1:13
	;; [unrolled: 1-line block ×5, first 2 shown]
	s_and_saveexec_b32 s0, vcc_lo
	s_cbranch_execz .LBB0_9
; %bb.8:
	v_mul_f16_sdwa v15, v48, v61 dst_sel:DWORD dst_unused:UNUSED_PAD src0_sel:WORD_1 src1_sel:DWORD
	v_mul_f16_sdwa v16, v48, v14 dst_sel:DWORD dst_unused:UNUSED_PAD src0_sel:WORD_1 src1_sel:DWORD
	v_lshl_add_u32 v17, v47, 2, v44
	v_fmac_f16_e32 v15, v48, v14
	v_fma_f16 v14, v48, v61, -v16
	v_sub_f16_e32 v15, v13, v15
	v_sub_f16_e32 v14, v27, v14
	v_fma_f16 v13, v13, 2.0, -v15
	v_fma_f16 v16, v27, 2.0, -v14
	v_pack_b32_f16 v14, v15, v14
	v_add_nc_u32_e32 v15, 0x400, v17
	v_pack_b32_f16 v13, v13, v16
	ds_write2_b32 v15, v13, v14 offset0:56 offset1:69
.LBB0_9:
	s_or_b32 exec_lo, exec_lo, s0
	s_waitcnt lgkmcnt(0)
	s_barrier
	buffer_gl0_inv
	ds_read2_b32 v[14:15], v34 offset1:26
	ds_read2_b32 v[16:17], v34 offset0:52 offset1:78
	ds_read2_b32 v[18:19], v34 offset0:104 offset1:130
	;; [unrolled: 1-line block ×4, first 2 shown]
	v_add_nc_u32_e32 v13, 0x400, v34
	ds_read_b32 v26, v34 offset:1248
	ds_read2_b32 v[24:25], v13 offset0:4 offset1:30
	s_mov_b32 s4, 0x7ab2bedd
	s_mov_b32 s5, 0x3f683c97
	s_waitcnt lgkmcnt(6)
	v_lshrrev_b32_e32 v27, 16, v15
	s_waitcnt lgkmcnt(5)
	v_lshrrev_b32_e32 v28, 16, v16
	v_lshrrev_b32_e32 v44, 16, v17
	v_mul_f16_sdwa v52, v8, v15 dst_sel:DWORD dst_unused:UNUSED_PAD src0_sel:WORD_1 src1_sel:DWORD
	s_waitcnt lgkmcnt(4)
	v_lshrrev_b32_e32 v45, 16, v18
	v_lshrrev_b32_e32 v46, 16, v19
	v_mul_f16_sdwa v53, v9, v16 dst_sel:DWORD dst_unused:UNUSED_PAD src0_sel:WORD_1 src1_sel:DWORD
	v_mul_f16_sdwa v55, v8, v27 dst_sel:DWORD dst_unused:UNUSED_PAD src0_sel:WORD_1 src1_sel:DWORD
	;; [unrolled: 1-line block ×3, first 2 shown]
	v_fma_f16 v27, v8, v27, -v52
	v_mul_f16_sdwa v52, v10, v44 dst_sel:DWORD dst_unused:UNUSED_PAD src0_sel:WORD_1 src1_sel:DWORD
	s_waitcnt lgkmcnt(3)
	v_lshrrev_b32_e32 v47, 16, v20
	v_fmac_f16_e32 v55, v8, v15
	v_fmac_f16_e32 v56, v9, v16
	v_fma_f16 v15, v9, v28, -v53
	v_mul_f16_sdwa v8, v10, v17 dst_sel:DWORD dst_unused:UNUSED_PAD src0_sel:WORD_1 src1_sel:DWORD
	v_fmac_f16_e32 v52, v10, v17
	v_mul_f16_sdwa v16, v11, v45 dst_sel:DWORD dst_unused:UNUSED_PAD src0_sel:WORD_1 src1_sel:DWORD
	v_mul_f16_sdwa v17, v11, v18 dst_sel:DWORD dst_unused:UNUSED_PAD src0_sel:WORD_1 src1_sel:DWORD
	;; [unrolled: 1-line block ×3, first 2 shown]
	v_fma_f16 v28, v10, v44, -v8
	v_mul_f16_sdwa v10, v4, v19 dst_sel:DWORD dst_unused:UNUSED_PAD src0_sel:WORD_1 src1_sel:DWORD
	v_fmac_f16_e32 v16, v11, v18
	v_fma_f16 v11, v11, v45, -v17
	v_fmac_f16_e32 v9, v4, v19
	v_mul_f16_sdwa v8, v5, v47 dst_sel:DWORD dst_unused:UNUSED_PAD src0_sel:WORD_1 src1_sel:DWORD
	v_mul_f16_sdwa v17, v5, v20 dst_sel:DWORD dst_unused:UNUSED_PAD src0_sel:WORD_1 src1_sel:DWORD
	v_add_f16_e32 v18, v14, v55
	v_add_f16_sdwa v19, v14, v27 dst_sel:DWORD dst_unused:UNUSED_PAD src0_sel:WORD_1 src1_sel:DWORD
	v_lshrrev_b32_e32 v48, 16, v21
	v_fmac_f16_e32 v8, v5, v20
	v_fma_f16 v5, v5, v47, -v17
	v_add_f16_e32 v17, v18, v56
	v_add_f16_e32 v18, v19, v15
	s_waitcnt lgkmcnt(2)
	v_lshrrev_b32_e32 v49, 16, v22
	v_fma_f16 v10, v4, v46, -v10
	v_mul_f16_sdwa v4, v6, v48 dst_sel:DWORD dst_unused:UNUSED_PAD src0_sel:WORD_1 src1_sel:DWORD
	v_mul_f16_sdwa v19, v6, v21 dst_sel:DWORD dst_unused:UNUSED_PAD src0_sel:WORD_1 src1_sel:DWORD
	v_add_f16_e32 v17, v17, v52
	v_add_f16_e32 v18, v18, v28
	v_lshrrev_b32_e32 v50, 16, v23
	v_fmac_f16_e32 v4, v6, v21
	v_mul_f16_sdwa v20, v7, v49 dst_sel:DWORD dst_unused:UNUSED_PAD src0_sel:WORD_1 src1_sel:DWORD
	v_fma_f16 v6, v6, v48, -v19
	v_mul_f16_sdwa v19, v7, v22 dst_sel:DWORD dst_unused:UNUSED_PAD src0_sel:WORD_1 src1_sel:DWORD
	v_add_f16_e32 v17, v17, v16
	v_add_f16_e32 v18, v18, v11
	s_waitcnt lgkmcnt(0)
	v_lshrrev_b32_e32 v54, 16, v24
	v_fmac_f16_e32 v20, v7, v22
	v_mul_f16_sdwa v21, v0, v50 dst_sel:DWORD dst_unused:UNUSED_PAD src0_sel:WORD_1 src1_sel:DWORD
	v_fma_f16 v7, v7, v49, -v19
	v_mul_f16_sdwa v19, v0, v23 dst_sel:DWORD dst_unused:UNUSED_PAD src0_sel:WORD_1 src1_sel:DWORD
	v_add_f16_e32 v17, v17, v9
	v_add_f16_e32 v18, v18, v10
	v_fmac_f16_e32 v21, v0, v23
	v_mul_f16_sdwa v22, v1, v54 dst_sel:DWORD dst_unused:UNUSED_PAD src0_sel:WORD_1 src1_sel:DWORD
	v_fma_f16 v19, v0, v50, -v19
	v_add_f16_e32 v0, v17, v8
	v_add_f16_e32 v17, v18, v5
	v_mul_f16_sdwa v18, v1, v24 dst_sel:DWORD dst_unused:UNUSED_PAD src0_sel:WORD_1 src1_sel:DWORD
	v_lshrrev_b32_e32 v51, 16, v26
	v_lshrrev_b32_e32 v57, 16, v25
	v_fmac_f16_e32 v22, v1, v24
	v_add_f16_e32 v17, v17, v6
	v_fma_f16 v18, v1, v54, -v18
	v_mul_f16_sdwa v1, v3, v26 dst_sel:DWORD dst_unused:UNUSED_PAD src0_sel:WORD_1 src1_sel:DWORD
	v_mul_f16_sdwa v23, v2, v57 dst_sel:DWORD dst_unused:UNUSED_PAD src0_sel:WORD_1 src1_sel:DWORD
	v_add_f16_e32 v0, v0, v4
	v_add_f16_e32 v17, v17, v7
	v_mul_f16_sdwa v24, v3, v51 dst_sel:DWORD dst_unused:UNUSED_PAD src0_sel:WORD_1 src1_sel:DWORD
	v_fma_f16 v1, v3, v51, -v1
	v_fmac_f16_e32 v23, v2, v25
	v_add_f16_e32 v0, v0, v20
	v_mul_f16_sdwa v25, v2, v25 dst_sel:DWORD dst_unused:UNUSED_PAD src0_sel:WORD_1 src1_sel:DWORD
	v_add_f16_e32 v17, v17, v19
	v_fmac_f16_e32 v24, v3, v26
	v_sub_f16_e32 v3, v27, v1
	v_add_f16_e32 v0, v0, v21
	v_fma_f16 v2, v2, v57, -v25
	v_add_f16_e32 v17, v17, v18
	v_add_f16_e32 v25, v55, v24
	v_mul_f16_e32 v26, 0xb770, v3
	v_add_f16_e32 v0, v0, v22
	v_add_f16_e32 v27, v27, v1
	;; [unrolled: 1-line block ×3, first 2 shown]
	v_sub_f16_e32 v65, v15, v2
	v_fmamk_f16 v45, v25, 0x3b15, v26
	v_add_f16_e32 v0, v0, v23
	v_sub_f16_e32 v44, v55, v24
	v_mul_f16_e32 v46, 0x3b15, v27
	v_add_f16_e32 v1, v17, v1
	v_add_f16_e32 v17, v14, v45
	v_mul_f16_e32 v45, 0xba95, v3
	v_mul_f16_e32 v47, 0x388b, v27
	;; [unrolled: 1-line block ×10, first 2 shown]
	v_add_f16_e32 v67, v56, v23
	v_mul_f16_e32 v68, 0xba95, v65
	v_add_f16_e32 v2, v15, v2
	v_add_f16_e32 v0, v0, v24
	v_fmamk_f16 v24, v44, 0x3770, v46
	v_fma_f16 v26, v25, 0x3b15, -v26
	v_fmac_f16_e32 v46, 0xb770, v44
	v_fmamk_f16 v48, v25, 0x388b, v45
	v_fmamk_f16 v49, v44, 0x3a95, v47
	v_fma_f16 v45, v25, 0x388b, -v45
	v_fmac_f16_e32 v47, 0xba95, v44
	v_fmamk_f16 v51, v25, 0x2fb7, v50
	;; [unrolled: 4-line block ×5, first 2 shown]
	v_fmamk_f16 v66, v44, 0x33a8, v27
	v_fma_f16 v3, v25, 0xbbc4, -v3
	v_fmac_f16_e32 v27, 0xb3a8, v44
	v_sub_f16_e32 v15, v56, v23
	v_fmamk_f16 v23, v67, 0x388b, v68
	v_mul_f16_e32 v25, 0x388b, v2
	v_add_f16_sdwa v24, v14, v24 dst_sel:DWORD dst_unused:UNUSED_PAD src0_sel:WORD_1 src1_sel:DWORD
	v_add_f16_e32 v26, v14, v26
	v_add_f16_sdwa v46, v14, v46 dst_sel:DWORD dst_unused:UNUSED_PAD src0_sel:WORD_1 src1_sel:DWORD
	v_add_f16_e32 v48, v14, v48
	;; [unrolled: 2-line block ×12, first 2 shown]
	v_fmamk_f16 v23, v15, 0x3a95, v25
	v_mul_f16_e32 v27, 0xbb7b, v65
	v_fma_f16 v56, v67, 0x388b, -v68
	v_fmac_f16_e32 v25, 0xba95, v15
	v_mul_f16_e32 v66, 0xb5ac, v2
	v_add_f16_e32 v23, v23, v24
	v_fmamk_f16 v24, v67, 0xb5ac, v27
	v_add_f16_e32 v26, v56, v26
	v_add_f16_e32 v25, v25, v46
	v_fmamk_f16 v46, v15, 0x3b7b, v66
	v_mul_f16_e32 v56, 0xb3a8, v65
	v_add_f16_e32 v24, v24, v48
	v_fma_f16 v27, v67, 0xb5ac, -v27
	v_fmac_f16_e32 v66, 0xbb7b, v15
	v_add_f16_e32 v46, v46, v49
	v_fmamk_f16 v48, v67, 0xbbc4, v56
	v_mul_f16_e32 v49, 0xbbc4, v2
	v_add_f16_e32 v27, v27, v45
	v_add_f16_e32 v45, v66, v47
	v_mul_f16_e32 v47, 0x394e, v65
	v_add_f16_e32 v48, v48, v51
	v_fmamk_f16 v51, v15, 0x33a8, v49
	v_fma_f16 v56, v67, 0xbbc4, -v56
	v_mul_f16_e32 v68, 0xb9fd, v2
	v_fmac_f16_e32 v49, 0xb3a8, v15
	v_fmamk_f16 v66, v67, 0xb9fd, v47
	v_add_f16_e32 v51, v51, v55
	v_add_f16_e32 v50, v56, v50
	v_fmamk_f16 v55, v15, 0xb94e, v68
	v_mul_f16_e32 v56, 0x3bf1, v65
	v_add_f16_e32 v49, v49, v53
	v_add_f16_e32 v53, v66, v57
	v_fma_f16 v47, v67, 0xb9fd, -v47
	v_mul_f16_e32 v57, 0x2fb7, v2
	v_add_f16_e32 v55, v55, v59
	v_fmamk_f16 v59, v67, 0x2fb7, v56
	v_mul_f16_e32 v65, 0x3770, v65
	v_fma_f16 v56, v67, 0x2fb7, -v56
	v_add_f16_e32 v47, v47, v54
	v_fmamk_f16 v54, v15, 0xbbf1, v57
	v_add_f16_e32 v59, v59, v62
	v_fmac_f16_e32 v57, 0x3bf1, v15
	v_fmamk_f16 v62, v67, 0x3b15, v65
	v_add_f16_e32 v56, v56, v60
	v_sub_f16_e32 v60, v28, v18
	v_add_f16_e32 v54, v54, v63
	v_mul_f16_e32 v2, 0x3b15, v2
	v_add_f16_e32 v57, v57, v61
	v_add_f16_e32 v61, v62, v64
	;; [unrolled: 1-line block ×3, first 2 shown]
	v_mul_f16_e32 v64, 0xbbf1, v60
	v_add_f16_e32 v18, v28, v18
	v_fmac_f16_e32 v68, 0x394e, v15
	v_fmamk_f16 v62, v15, 0xb770, v2
	v_fma_f16 v28, v67, 0x3b15, -v65
	v_fmac_f16_e32 v2, 0x3770, v15
	v_sub_f16_e32 v15, v52, v22
	v_fmamk_f16 v22, v63, 0x2fb7, v64
	v_mul_f16_e32 v52, 0x2fb7, v18
	v_add_f16_e32 v44, v62, v44
	v_add_f16_e32 v3, v28, v3
	;; [unrolled: 1-line block ×4, first 2 shown]
	v_fmamk_f16 v17, v15, 0x3bf1, v52
	v_mul_f16_e32 v22, 0xb3a8, v60
	v_fma_f16 v28, v63, 0x2fb7, -v64
	v_fmac_f16_e32 v52, 0xbbf1, v15
	v_mul_f16_e32 v62, 0xbbc4, v18
	v_add_f16_e32 v17, v17, v23
	v_fmamk_f16 v23, v63, 0xbbc4, v22
	v_add_f16_e32 v26, v28, v26
	v_add_f16_e32 v25, v52, v25
	v_fmamk_f16 v28, v15, 0x33a8, v62
	v_mul_f16_e32 v52, 0x3b7b, v60
	v_fma_f16 v22, v63, 0xbbc4, -v22
	v_fmac_f16_e32 v62, 0xb3a8, v15
	v_add_f16_e32 v23, v23, v24
	v_add_f16_e32 v24, v28, v46
	v_fmamk_f16 v28, v63, 0xb5ac, v52
	v_mul_f16_e32 v46, 0xb5ac, v18
	v_add_f16_e32 v22, v22, v27
	v_add_f16_e32 v27, v62, v45
	v_mul_f16_e32 v45, 0x3770, v60
	v_add_f16_e32 v28, v28, v48
	v_fmamk_f16 v48, v15, 0xbb7b, v46
	v_fma_f16 v52, v63, 0xb5ac, -v52
	v_fmac_f16_e32 v46, 0x3b7b, v15
	v_fmamk_f16 v62, v63, 0x3b15, v45
	v_mul_f16_e32 v64, 0x3b15, v18
	v_add_f16_e32 v48, v48, v51
	v_add_f16_e32 v50, v52, v50
	;; [unrolled: 1-line block ×4, first 2 shown]
	v_fmamk_f16 v51, v15, 0xb770, v64
	v_mul_f16_e32 v52, 0xba95, v60
	v_fma_f16 v45, v63, 0x3b15, -v45
	v_mul_f16_e32 v53, 0x388b, v18
	v_mul_f16_e32 v60, 0xb94e, v60
	v_add_f16_e32 v51, v51, v55
	v_fmamk_f16 v55, v63, 0x388b, v52
	v_add_f16_e32 v45, v45, v47
	v_fmamk_f16 v47, v15, 0x3a95, v53
	v_fma_f16 v52, v63, 0x388b, -v52
	v_fmac_f16_e32 v53, 0xba95, v15
	v_add_f16_e32 v55, v55, v59
	v_mul_f16_e32 v18, 0xb9fd, v18
	v_add_f16_e32 v47, v47, v54
	v_fmamk_f16 v54, v63, 0xb9fd, v60
	v_add_f16_e32 v52, v52, v56
	v_sub_f16_e32 v56, v11, v19
	v_add_f16_e32 v59, v16, v21
	v_add_f16_e32 v11, v11, v19
	;; [unrolled: 1-line block ×3, first 2 shown]
	v_fmac_f16_e32 v64, 0x3770, v15
	v_mul_f16_e32 v61, 0xbb7b, v56
	v_add_f16_e32 v53, v53, v57
	v_fmamk_f16 v57, v15, 0x394e, v18
	v_fma_f16 v19, v63, 0xb9fd, -v60
	v_fmac_f16_e32 v18, 0xb94e, v15
	v_sub_f16_e32 v15, v16, v21
	v_fmamk_f16 v16, v59, 0xb5ac, v61
	v_mul_f16_e32 v21, 0xb5ac, v11
	v_add_f16_e32 v44, v57, v44
	v_add_f16_e32 v3, v19, v3
	;; [unrolled: 1-line block ×4, first 2 shown]
	v_fmamk_f16 v16, v15, 0x3b7b, v21
	v_mul_f16_e32 v18, 0x394e, v56
	v_fma_f16 v19, v59, 0xb5ac, -v61
	v_fmac_f16_e32 v21, 0xbb7b, v15
	v_mul_f16_e32 v57, 0xb9fd, v11
	v_add_f16_e32 v16, v16, v17
	v_fmamk_f16 v17, v59, 0xb9fd, v18
	v_add_f16_e32 v19, v19, v26
	v_add_f16_e32 v21, v21, v25
	v_fmamk_f16 v25, v15, 0xb94e, v57
	v_mul_f16_e32 v26, 0x3770, v56
	v_fma_f16 v18, v59, 0xb9fd, -v18
	v_fmac_f16_e32 v57, 0x394e, v15
	v_add_f16_e32 v17, v17, v23
	v_add_f16_e32 v23, v25, v24
	v_fmamk_f16 v24, v59, 0x3b15, v26
	v_mul_f16_e32 v25, 0x3b15, v11
	v_add_f16_e32 v18, v18, v22
	v_add_f16_e32 v22, v57, v27
	v_mul_f16_e32 v27, 0xbbf1, v56
	v_add_f16_e32 v24, v24, v28
	v_fmamk_f16 v28, v15, 0xb770, v25
	v_fmac_f16_e32 v25, 0x3770, v15
	v_mul_f16_e32 v60, 0x2fb7, v11
	v_fmamk_f16 v57, v59, 0x2fb7, v27
	v_fma_f16 v26, v59, 0x3b15, -v26
	v_add_f16_e32 v28, v28, v48
	v_add_f16_e32 v25, v25, v46
	v_fmamk_f16 v48, v15, 0x3bf1, v60
	v_add_f16_e32 v46, v57, v49
	v_mul_f16_e32 v49, 0x33a8, v56
	v_add_f16_e32 v26, v26, v50
	v_mul_f16_e32 v50, 0xbbc4, v11
	;; [unrolled: 2-line block ×3, first 2 shown]
	v_fmamk_f16 v51, v59, 0xbbc4, v49
	v_fma_f16 v49, v59, 0xbbc4, -v49
	v_fmamk_f16 v57, v15, 0xb3a8, v50
	v_fmac_f16_e32 v50, 0x33a8, v15
	v_mul_f16_e32 v11, 0x388b, v11
	v_add_f16_e32 v51, v51, v55
	v_fmamk_f16 v55, v59, 0x388b, v56
	v_add_f16_e32 v49, v49, v52
	v_sub_f16_e32 v52, v10, v7
	v_add_f16_e32 v7, v10, v7
	v_fmac_f16_e32 v60, 0xbbf1, v15
	v_add_f16_e32 v50, v50, v53
	v_add_f16_e32 v53, v55, v54
	v_fmamk_f16 v54, v15, 0xba95, v11
	v_add_f16_e32 v55, v9, v20
	v_mul_f16_e32 v10, 0xb94e, v52
	v_fmac_f16_e32 v11, 0x3a95, v15
	v_sub_f16_e32 v9, v9, v20
	v_mul_f16_e32 v15, 0xb9fd, v7
	v_add_f16_e32 v44, v54, v44
	v_fmamk_f16 v20, v55, 0xb9fd, v10
	v_add_f16_e32 v2, v11, v2
	v_fma_f16 v10, v55, 0xb9fd, -v10
	v_fmamk_f16 v11, v9, 0x394e, v15
	v_fmac_f16_e32 v15, 0xb94e, v9
	v_add_f16_e32 v14, v20, v14
	v_mul_f16_e32 v20, 0x3bf1, v52
	v_add_f16_e32 v10, v10, v19
	v_add_f16_e32 v11, v11, v16
	v_mul_f16_e32 v16, 0x2fb7, v7
	v_add_f16_e32 v15, v15, v21
	v_fmamk_f16 v54, v55, 0x2fb7, v20
	v_mul_f16_e32 v19, 0xba95, v52
	v_add_f16_e32 v58, v68, v58
	v_fmamk_f16 v21, v9, 0xbbf1, v16
	v_fmac_f16_e32 v16, 0x3bf1, v9
	v_fma_f16 v56, v59, 0x388b, -v56
	v_add_f16_e32 v17, v54, v17
	v_fma_f16 v20, v55, 0x2fb7, -v20
	v_fmamk_f16 v54, v55, 0x388b, v19
	v_add_f16_e32 v21, v21, v23
	v_mul_f16_e32 v23, 0x388b, v7
	v_add_f16_e32 v16, v16, v22
	v_mul_f16_e32 v22, 0x33a8, v52
	v_add_f16_e32 v58, v64, v58
	v_fma_f16 v27, v59, 0x2fb7, -v27
	v_add_f16_e32 v3, v56, v3
	v_add_f16_e32 v18, v20, v18
	;; [unrolled: 1-line block ×3, first 2 shown]
	v_fmamk_f16 v24, v9, 0x3a95, v23
	v_fma_f16 v19, v55, 0x388b, -v19
	v_fmac_f16_e32 v23, 0xba95, v9
	v_mul_f16_e32 v54, 0xbbc4, v7
	v_fmamk_f16 v56, v55, 0xbbc4, v22
	v_add_f16_e32 v27, v27, v45
	v_add_f16_e32 v45, v60, v58
	;; [unrolled: 1-line block ×5, first 2 shown]
	v_fmamk_f16 v25, v9, 0xb3a8, v54
	v_add_f16_e32 v26, v56, v46
	v_mul_f16_e32 v28, 0x3770, v52
	v_fma_f16 v22, v55, 0xbbc4, -v22
	v_fmac_f16_e32 v54, 0x33a8, v9
	v_mul_f16_e32 v46, 0x3b15, v7
	v_add_f16_e32 v25, v25, v48
	v_fmamk_f16 v48, v55, 0x3b15, v28
	v_add_f16_e32 v22, v22, v27
	v_add_f16_e32 v27, v54, v45
	v_mul_f16_e32 v45, 0xbb7b, v52
	v_fmamk_f16 v52, v9, 0xb770, v46
	v_fmac_f16_e32 v46, 0x3770, v9
	v_add_f16_e32 v47, v57, v47
	v_add_f16_e32 v48, v48, v51
	v_fma_f16 v28, v55, 0x3b15, -v28
	v_fmamk_f16 v51, v55, 0xb5ac, v45
	v_mul_f16_e32 v7, 0xb5ac, v7
	v_add_f16_e32 v46, v46, v50
	v_sub_f16_e32 v50, v5, v6
	v_add_f16_e32 v5, v5, v6
	v_add_f16_e32 v47, v52, v47
	;; [unrolled: 1-line block ×4, first 2 shown]
	v_fmamk_f16 v51, v9, 0x3b7b, v7
	v_fma_f16 v45, v55, 0xb5ac, -v45
	v_add_f16_e32 v6, v8, v4
	v_mul_f16_e32 v52, 0xb3a8, v50
	v_fmac_f16_e32 v7, 0xbb7b, v9
	v_sub_f16_e32 v4, v8, v4
	v_mul_f16_e32 v8, 0xbbc4, v5
	v_add_f16_e32 v9, v51, v44
	v_fmamk_f16 v44, v6, 0xbbc4, v52
	v_add_f16_e32 v3, v45, v3
	v_add_f16_e32 v2, v7, v2
	v_fmamk_f16 v7, v4, 0x33a8, v8
	v_mul_f16_e32 v45, 0x3770, v50
	v_add_f16_e32 v14, v44, v14
	v_fma_f16 v44, v6, 0xbbc4, -v52
	v_fmac_f16_e32 v8, 0xb3a8, v4
	v_add_f16_e32 v7, v7, v11
	v_fmamk_f16 v11, v6, 0x3b15, v45
	v_mul_f16_e32 v51, 0x3b15, v5
	v_add_f16_e32 v10, v44, v10
	v_add_f16_e32 v8, v8, v15
	v_mul_f16_e32 v15, 0xb94e, v50
	v_add_f16_e32 v11, v11, v17
	v_fmamk_f16 v17, v4, 0xb770, v51
	v_fma_f16 v44, v6, 0x3b15, -v45
	v_mul_f16_e32 v52, 0xb9fd, v5
	v_fmamk_f16 v45, v6, 0xb9fd, v15
	v_fmac_f16_e32 v51, 0x3770, v4
	v_add_f16_e32 v17, v17, v21
	v_add_f16_e32 v18, v44, v18
	v_fmamk_f16 v21, v4, 0x394e, v52
	v_mul_f16_e32 v44, 0x3a95, v50
	v_add_f16_e32 v20, v45, v20
	v_fma_f16 v15, v6, 0xb9fd, -v15
	v_fmac_f16_e32 v52, 0xb94e, v4
	v_mul_f16_e32 v45, 0x388b, v5
	v_add_f16_e32 v21, v21, v24
	v_fmamk_f16 v24, v6, 0x388b, v44
	v_add_f16_e32 v16, v51, v16
	v_add_f16_e32 v15, v15, v19
	v_add_f16_e32 v19, v52, v23
	v_fmamk_f16 v23, v4, 0xba95, v45
	v_mul_f16_e32 v51, 0xbb7b, v50
	v_add_f16_e32 v24, v24, v26
	v_fma_f16 v26, v6, 0x388b, -v44
	v_fmac_f16_e32 v45, 0x3a95, v4
	v_mul_f16_e32 v44, 0xb5ac, v5
	v_add_f16_e32 v23, v23, v25
	v_fmamk_f16 v25, v6, 0xb5ac, v51
	v_add_f16_e32 v22, v26, v22
	v_add_f16_e32 v26, v45, v27
	v_mul_f16_e32 v27, 0x3bf1, v50
	v_fmamk_f16 v45, v4, 0x3b7b, v44
	v_mul_f16_e32 v5, 0x2fb7, v5
	v_add_f16_e32 v25, v25, v48
	v_fma_f16 v48, v6, 0xb5ac, -v51
	v_fmac_f16_e32 v44, 0xbb7b, v4
	v_fmamk_f16 v50, v6, 0x2fb7, v27
	v_add_f16_e32 v45, v45, v47
	v_fmamk_f16 v47, v4, 0xbbf1, v5
	v_fma_f16 v6, v6, 0x2fb7, -v27
	v_fmac_f16_e32 v5, 0x3bf1, v4
	v_pack_b32_f16 v0, v0, v1
	v_pack_b32_f16 v1, v14, v7
	v_add_f16_e32 v44, v44, v46
	v_add_f16_e32 v46, v50, v49
	v_pack_b32_f16 v4, v11, v17
	v_pack_b32_f16 v7, v20, v21
	v_add_f16_e32 v9, v47, v9
	v_add_f16_e32 v3, v6, v3
	;; [unrolled: 1-line block ×4, first 2 shown]
	ds_write2_b32 v34, v0, v1 offset1:26
	ds_write2_b32 v34, v4, v7 offset0:52 offset1:78
	v_pack_b32_f16 v0, v24, v23
	v_pack_b32_f16 v1, v25, v45
	;; [unrolled: 1-line block ×9, first 2 shown]
	ds_write2_b32 v34, v0, v1 offset0:104 offset1:130
	ds_write2_b32 v34, v4, v2 offset0:156 offset1:182
	;; [unrolled: 1-line block ×4, first 2 shown]
	ds_write_b32 v34, v8 offset:1248
	s_waitcnt lgkmcnt(0)
	s_barrier
	buffer_gl0_inv
	ds_read2_b32 v[0:1], v34 offset1:26
	v_mad_u64_u32 v[6:7], null, s10, v12, 0
	s_waitcnt lgkmcnt(0)
	v_lshrrev_b32_e32 v4, 16, v0
	v_lshrrev_b32_e32 v14, 16, v1
	v_mul_f16_sdwa v2, v43, v4 dst_sel:DWORD dst_unused:UNUSED_PAD src0_sel:WORD_1 src1_sel:DWORD
	v_mul_f16_sdwa v11, v42, v14 dst_sel:DWORD dst_unused:UNUSED_PAD src0_sel:WORD_1 src1_sel:DWORD
	v_fmac_f16_e32 v2, v43, v0
	v_mul_f16_sdwa v0, v43, v0 dst_sel:DWORD dst_unused:UNUSED_PAD src0_sel:WORD_1 src1_sel:DWORD
	v_fmac_f16_e32 v11, v42, v1
	v_cvt_f32_f16_e32 v2, v2
	v_fma_f16 v0, v43, v4, -v0
	v_cvt_f64_f32_e32 v[2:3], v2
	v_cvt_f32_f16_e32 v0, v0
	v_cvt_f64_f32_e32 v[4:5], v0
	v_mul_f64 v[2:3], v[2:3], s[4:5]
	v_mul_f64 v[4:5], v[4:5], s[4:5]
	v_and_or_b32 v0, 0x1ff, v3, v2
	v_lshrrev_b32_e32 v2, 8, v3
	v_bfe_u32 v8, v3, 20, 11
	v_cmp_ne_u32_e32 vcc_lo, 0, v0
	v_and_or_b32 v4, 0x1ff, v5, v4
	v_lshrrev_b32_e32 v15, 8, v5
	v_bfe_u32 v16, v5, 20, 11
	v_add_nc_u32_e32 v17, 0xfffffc10, v8
	v_cndmask_b32_e64 v0, 0, 1, vcc_lo
	v_cmp_ne_u32_e32 vcc_lo, 0, v4
	v_and_or_b32 v2, 0xffe, v2, v0
	v_sub_nc_u32_e32 v0, 0x3f1, v8
	v_cndmask_b32_e64 v4, 0, 1, vcc_lo
	v_or_b32_e32 v9, 0x1000, v2
	v_med3_i32 v0, v0, 0, 13
	v_and_or_b32 v4, 0xffe, v15, v4
	v_sub_nc_u32_e32 v15, 0x3f1, v16
	v_lshrrev_b32_e32 v10, v0, v9
	v_or_b32_e32 v18, 0x1000, v4
	v_lshlrev_b32_e32 v0, v0, v10
	v_cmp_ne_u32_e32 vcc_lo, v0, v9
	v_cvt_f32_f16_e32 v9, v11
	v_med3_i32 v11, v15, 0, 13
	v_lshl_or_b32 v15, v17, 12, v2
	v_cndmask_b32_e64 v0, 0, 1, vcc_lo
	v_cvt_f64_f32_e32 v[8:9], v9
	v_lshrrev_b32_e32 v19, v11, v18
	v_cmp_gt_i32_e32 vcc_lo, 1, v17
	v_or_b32_e32 v10, v10, v0
	v_mov_b32_e32 v0, v7
	v_cndmask_b32_e32 v7, v15, v10, vcc_lo
	v_lshlrev_b32_e32 v15, v11, v19
	v_mad_u64_u32 v[10:11], null, s11, v12, v[0:1]
	v_mul_f16_sdwa v0, v42, v1 dst_sel:DWORD dst_unused:UNUSED_PAD src0_sel:WORD_1 src1_sel:DWORD
	v_and_b32_e32 v1, 7, v7
	v_cmp_ne_u32_e32 vcc_lo, v15, v18
	v_add_nc_u32_e32 v12, 0xfffffc10, v16
	v_lshrrev_b32_e32 v7, 2, v7
	v_fma_f16 v0, v42, v14, -v0
	v_cmp_eq_u32_e64 s0, 3, v1
	v_cndmask_b32_e64 v11, 0, 1, vcc_lo
	v_cmp_lt_i32_e32 vcc_lo, 5, v1
	v_lshl_or_b32 v14, v12, 12, v4
	v_cvt_f32_f16_e32 v15, v0
	v_mul_f64 v[0:1], v[8:9], s[4:5]
	v_or_b32_e32 v11, v19, v11
	s_or_b32 vcc_lo, s0, vcc_lo
	v_cmp_gt_i32_e64 s1, 1, v12
	v_cvt_f64_f32_e32 v[8:9], v15
	v_add_co_ci_u32_e32 v7, vcc_lo, 0, v7, vcc_lo
	v_cmp_ne_u32_e32 vcc_lo, 0, v2
	v_cndmask_b32_e64 v11, v14, v11, s1
	v_cmp_eq_u32_e64 s1, 0x40f, v17
	v_cndmask_b32_e64 v2, 0, 1, vcc_lo
	v_cmp_gt_i32_e32 vcc_lo, 31, v17
	v_and_b32_e32 v14, 7, v11
	v_lshl_or_b32 v2, v2, 9, 0x7c00
	v_cndmask_b32_e32 v15, 0x7c00, v7, vcc_lo
	v_cmp_lt_i32_e32 vcc_lo, 5, v14
	v_cmp_eq_u32_e64 s0, 3, v14
	v_mov_b32_e32 v7, v10
	v_and_or_b32 v0, 0x1ff, v1, v0
	v_cndmask_b32_e64 v14, v15, v2, s1
	v_lshrrev_b32_e32 v2, 2, v11
	s_or_b32 vcc_lo, s0, vcc_lo
	v_lshrrev_b32_e32 v15, 16, v3
	v_lshrrev_b32_e32 v17, 8, v1
	v_bfe_u32 v18, v1, 20, 11
	v_add_co_ci_u32_e32 v16, vcc_lo, 0, v2, vcc_lo
	v_mul_f64 v[2:3], v[8:9], s[4:5]
	v_cmp_ne_u32_e32 vcc_lo, 0, v0
	ds_read2_b32 v[8:9], v34 offset0:52 offset1:78
	v_mad_u64_u32 v[10:11], null, s8, v41, 0
	v_and_or_b32 v19, 0x8000, v15, v14
	v_cndmask_b32_e64 v0, 0, 1, vcc_lo
	v_cmp_ne_u32_e32 vcc_lo, 0, v4
	v_and_or_b32 v17, 0xffe, v17, v0
	v_cndmask_b32_e64 v4, 0, 1, vcc_lo
	v_sub_nc_u32_e32 v0, 0x3f1, v18
	v_cmp_gt_i32_e32 vcc_lo, 31, v12
	v_add_nc_u32_e32 v18, 0xfffffc10, v18
	v_or_b32_e32 v14, 0x1000, v17
	v_lshl_or_b32 v4, v4, 9, 0x7c00
	v_med3_i32 v15, v0, 0, 13
	v_cndmask_b32_e32 v16, 0x7c00, v16, vcc_lo
	v_cmp_eq_u32_e32 vcc_lo, 0x40f, v12
	v_mov_b32_e32 v0, v11
	v_and_or_b32 v2, 0x1ff, v3, v2
	v_lshrrev_b32_e32 v11, 16, v5
	v_bfe_u32 v21, v3, 20, 11
	v_cndmask_b32_e32 v12, v16, v4, vcc_lo
	v_lshrrev_b32_e32 v16, v15, v14
	v_mad_u64_u32 v[4:5], null, s9, v41, v[0:1]
	v_cmp_ne_u32_e32 vcc_lo, 0, v2
	s_waitcnt lgkmcnt(0)
	v_lshrrev_b32_e32 v0, 16, v8
	v_lshlrev_b32_e32 v5, v15, v16
	v_lshrrev_b32_e32 v15, 8, v3
	v_lshrrev_b32_e32 v3, 16, v3
	v_cndmask_b32_e64 v2, 0, 1, vcc_lo
	v_mul_f16_sdwa v20, v40, v0 dst_sel:DWORD dst_unused:UNUSED_PAD src0_sel:WORD_1 src1_sel:DWORD
	v_cmp_ne_u32_e32 vcc_lo, v5, v14
	v_sub_nc_u32_e32 v14, 0x3f1, v21
	v_and_or_b32 v2, 0xffe, v15, v2
	v_fmac_f16_e32 v20, v40, v8
	v_cndmask_b32_e64 v5, 0, 1, vcc_lo
	v_lshl_or_b32 v15, v18, 12, v17
	v_cmp_gt_i32_e32 vcc_lo, 1, v18
	v_med3_i32 v22, v14, 0, 13
	v_mul_f16_sdwa v8, v40, v8 dst_sel:DWORD dst_unused:UNUSED_PAD src0_sel:WORD_1 src1_sel:DWORD
	v_or_b32_e32 v5, v16, v5
	v_cvt_f32_f16_e32 v16, v20
	v_or_b32_e32 v20, 0x1000, v2
	v_fma_f16 v0, v40, v0, -v8
	v_cndmask_b32_e32 v23, v15, v5, vcc_lo
	v_cvt_f64_f32_e32 v[14:15], v16
	v_lshrrev_b32_e32 v16, v22, v20
	v_and_or_b32 v5, 0x8000, v11, v12
	v_and_b32_e32 v12, 0xffff, v19
	v_and_b32_e32 v19, 7, v23
	v_mov_b32_e32 v11, v4
	v_lshlrev_b32_e32 v22, v22, v16
	v_cvt_f32_f16_e32 v0, v0
	v_lshl_or_b32 v12, v5, 16, v12
	v_cmp_lt_i32_e32 vcc_lo, 5, v19
	v_cmp_eq_u32_e64 s0, 3, v19
	v_lshlrev_b64 v[4:5], 2, v[6:7]
	v_lshrrev_b32_e32 v6, 2, v23
	v_cmp_ne_u32_e64 s1, v22, v20
	v_add_nc_u32_e32 v19, 0xfffffc10, v21
	s_or_b32 vcc_lo, s0, vcc_lo
	v_add_co_ci_u32_e32 v20, vcc_lo, 0, v6, vcc_lo
	v_cndmask_b32_e64 v7, 0, 1, s1
	v_cmp_ne_u32_e32 vcc_lo, 0, v17
	v_lshl_or_b32 v21, v19, 12, v2
	v_or_b32_e32 v16, v16, v7
	v_cndmask_b32_e64 v8, 0, 1, vcc_lo
	v_cmp_gt_i32_e32 vcc_lo, 1, v19
	v_mul_f64 v[6:7], v[14:15], s[4:5]
	v_cvt_f64_f32_e32 v[14:15], v0
	v_lshl_or_b32 v8, v8, 9, 0x7c00
	v_cndmask_b32_e32 v16, v21, v16, vcc_lo
	v_cmp_gt_i32_e32 vcc_lo, 31, v18
	v_cndmask_b32_e32 v17, 0x7c00, v20, vcc_lo
	v_add_co_u32 v21, vcc_lo, s2, v4
	v_add_co_ci_u32_e32 v22, vcc_lo, s3, v5, vcc_lo
	v_and_b32_e32 v20, 7, v16
	v_cmp_eq_u32_e32 vcc_lo, 0x40f, v18
	v_lshrrev_b32_e32 v5, 16, v1
	v_lshlrev_b64 v[0:1], 2, v[10:11]
	s_mul_hi_u32 s2, s8, 0x68
	v_cmp_eq_u32_e64 s0, 3, v20
	v_cndmask_b32_e32 v4, v17, v8, vcc_lo
	v_cmp_lt_i32_e32 vcc_lo, 5, v20
	v_lshrrev_b32_e32 v8, 2, v16
	v_lshrrev_b32_e32 v11, 8, v7
	s_mul_i32 s3, s8, 0x68
	v_and_or_b32 v10, 0x8000, v5, v4
	s_or_b32 vcc_lo, s0, vcc_lo
	v_and_or_b32 v4, 0x1ff, v7, v6
	v_add_co_ci_u32_e32 v6, vcc_lo, 0, v8, vcc_lo
	v_cmp_ne_u32_e32 vcc_lo, 0, v2
	s_mul_i32 s0, s9, 0x68
	s_add_i32 s2, s2, s0
	v_cndmask_b32_e64 v2, 0, 1, vcc_lo
	v_cmp_ne_u32_e32 vcc_lo, 0, v4
	v_mul_f64 v[4:5], v[14:15], s[4:5]
	v_bfe_u32 v14, v7, 20, 11
	v_lshrrev_b32_e32 v15, 16, v9
	v_lshl_or_b32 v2, v2, 9, 0x7c00
	v_cndmask_b32_e64 v8, 0, 1, vcc_lo
	v_cmp_gt_i32_e32 vcc_lo, 31, v19
	v_mul_f16_sdwa v16, v39, v15 dst_sel:DWORD dst_unused:UNUSED_PAD src0_sel:WORD_1 src1_sel:DWORD
	v_and_or_b32 v11, 0xffe, v11, v8
	v_cndmask_b32_e32 v6, 0x7c00, v6, vcc_lo
	v_sub_nc_u32_e32 v8, 0x3f1, v14
	v_cmp_eq_u32_e32 vcc_lo, 0x40f, v19
	v_fmac_f16_e32 v16, v39, v9
	v_add_nc_u32_e32 v14, 0xfffffc10, v14
	v_mul_f16_sdwa v9, v39, v9 dst_sel:DWORD dst_unused:UNUSED_PAD src0_sel:WORD_1 src1_sel:DWORD
	v_med3_i32 v8, v8, 0, 13
	v_cndmask_b32_e32 v2, v6, v2, vcc_lo
	v_or_b32_e32 v6, 0x1000, v11
	v_add_co_u32 v0, vcc_lo, v21, v0
	v_add_co_ci_u32_e32 v1, vcc_lo, v22, v1, vcc_lo
	v_and_or_b32 v2, 0x8000, v3, v2
	v_and_b32_e32 v3, 0xffff, v10
	v_lshrrev_b32_e32 v10, v8, v6
	v_and_or_b32 v4, 0x1ff, v5, v4
	global_store_dword v[0:1], v12, off
	v_bfe_u32 v17, v5, 20, 11
	v_lshl_or_b32 v12, v2, 16, v3
	v_lshlrev_b32_e32 v8, v8, v10
	v_cmp_ne_u32_e32 vcc_lo, 0, v4
	v_cvt_f32_f16_e32 v2, v16
	v_lshrrev_b32_e32 v16, 8, v5
	v_fma_f16 v9, v39, v15, -v9
	v_lshrrev_b32_e32 v5, 16, v5
	v_cndmask_b32_e64 v4, 0, 1, vcc_lo
	v_cmp_ne_u32_e32 vcc_lo, v8, v6
	v_cvt_f64_f32_e32 v[2:3], v2
	v_sub_nc_u32_e32 v8, 0x3f1, v17
	v_add_nc_u32_e32 v17, 0xfffffc10, v17
	v_and_or_b32 v4, 0xffe, v16, v4
	v_cndmask_b32_e64 v6, 0, 1, vcc_lo
	v_cmp_gt_i32_e32 vcc_lo, 1, v14
	v_med3_i32 v8, v8, 0, 13
	v_or_b32_e32 v16, 0x1000, v4
	v_or_b32_e32 v6, v10, v6
	v_lshl_or_b32 v10, v14, 12, v11
	v_cndmask_b32_e32 v6, v10, v6, vcc_lo
	v_lshrrev_b32_e32 v10, v8, v16
	v_add_co_u32 v0, vcc_lo, v0, s3
	v_add_co_ci_u32_e32 v1, vcc_lo, s2, v1, vcc_lo
	v_lshlrev_b32_e32 v18, v8, v10
	v_and_b32_e32 v15, 7, v6
	v_mul_f64 v[2:3], v[2:3], s[4:5]
	v_cvt_f32_f16_e32 v8, v9
	v_lshrrev_b32_e32 v6, 2, v6
	v_cmp_ne_u32_e64 s0, v18, v16
	v_cmp_lt_i32_e32 vcc_lo, 5, v15
	global_store_dword v[0:1], v12, off
	v_cvt_f64_f32_e32 v[8:9], v8
	v_lshl_or_b32 v12, v17, 12, v4
	v_cndmask_b32_e64 v16, 0, 1, s0
	v_cmp_eq_u32_e64 s0, 3, v15
	v_or_b32_e32 v10, v10, v16
	s_or_b32 vcc_lo, s0, vcc_lo
	v_add_co_ci_u32_e32 v6, vcc_lo, 0, v6, vcc_lo
	v_cmp_ne_u32_e32 vcc_lo, 0, v11
	v_and_or_b32 v2, 0x1ff, v3, v2
	v_cndmask_b32_e64 v11, 0, 1, vcc_lo
	v_cmp_gt_i32_e32 vcc_lo, 1, v17
	v_lshrrev_b32_e32 v18, 8, v3
	v_bfe_u32 v19, v3, 20, 11
	v_mul_f64 v[8:9], v[8:9], s[4:5]
	v_cndmask_b32_e32 v12, v12, v10, vcc_lo
	v_cmp_gt_i32_e32 vcc_lo, 31, v14
	v_lshl_or_b32 v15, v11, 9, 0x7c00
	ds_read2_b32 v[10:11], v34 offset0:104 offset1:130
	v_and_b32_e32 v16, 7, v12
	v_cndmask_b32_e32 v6, 0x7c00, v6, vcc_lo
	v_cmp_ne_u32_e32 vcc_lo, 0, v2
	v_cmp_eq_u32_e64 s0, 3, v16
	v_cndmask_b32_e64 v2, 0, 1, vcc_lo
	v_cmp_eq_u32_e32 vcc_lo, 0x40f, v14
	v_and_or_b32 v2, 0xffe, v18, v2
	v_cndmask_b32_e32 v14, v6, v15, vcc_lo
	v_cmp_lt_i32_e32 vcc_lo, 5, v16
	v_lshrrev_b32_e32 v15, 16, v7
	v_lshrrev_b32_e32 v7, 2, v12
	v_sub_nc_u32_e32 v6, 0x3f1, v19
	v_or_b32_e32 v12, 0x1000, v2
	s_or_b32 vcc_lo, s0, vcc_lo
	v_and_or_b32 v8, 0x1ff, v9, v8
	v_add_co_ci_u32_e32 v7, vcc_lo, 0, v7, vcc_lo
	v_med3_i32 v6, v6, 0, 13
	v_cmp_ne_u32_e32 vcc_lo, 0, v4
	s_waitcnt lgkmcnt(0)
	v_lshrrev_b32_e32 v18, 16, v10
	v_lshrrev_b32_e32 v21, 8, v9
	v_bfe_u32 v22, v9, 20, 11
	v_lshrrev_b32_e32 v16, v6, v12
	v_cndmask_b32_e64 v4, 0, 1, vcc_lo
	v_cmp_gt_i32_e32 vcc_lo, 31, v17
	v_and_or_b32 v14, 0x8000, v15, v14
	v_lshrrev_b32_e32 v9, 16, v9
	v_lshlrev_b32_e32 v6, v6, v16
	v_lshl_or_b32 v4, v4, 9, 0x7c00
	v_cndmask_b32_e32 v20, 0x7c00, v7, vcc_lo
	v_cmp_ne_u32_e32 vcc_lo, 0, v8
	v_mul_f16_sdwa v7, v38, v18 dst_sel:DWORD dst_unused:UNUSED_PAD src0_sel:WORD_1 src1_sel:DWORD
	v_and_b32_e32 v14, 0xffff, v14
	v_cndmask_b32_e64 v8, 0, 1, vcc_lo
	v_cmp_ne_u32_e32 vcc_lo, v6, v12
	v_fmac_f16_e32 v7, v38, v10
	v_add_nc_u32_e32 v12, 0xfffffc10, v19
	v_sub_nc_u32_e32 v19, 0x3f1, v22
	v_and_or_b32 v8, 0xffe, v21, v8
	v_cndmask_b32_e64 v6, 0, 1, vcc_lo
	v_cvt_f32_f16_e32 v7, v7
	v_lshl_or_b32 v21, v12, 12, v2
	v_med3_i32 v19, v19, 0, 13
	v_or_b32_e32 v23, 0x1000, v8
	v_or_b32_e32 v16, v16, v6
	v_cmp_gt_i32_e32 vcc_lo, 1, v12
	v_cvt_f64_f32_e32 v[6:7], v7
	v_mul_f16_sdwa v10, v38, v10 dst_sel:DWORD dst_unused:UNUSED_PAD src0_sel:WORD_1 src1_sel:DWORD
	v_cndmask_b32_e32 v16, v21, v16, vcc_lo
	v_cmp_eq_u32_e32 vcc_lo, 0x40f, v17
	v_lshrrev_b32_e32 v17, v19, v23
	v_and_b32_e32 v15, 7, v16
	v_cndmask_b32_e32 v4, v20, v4, vcc_lo
	v_lshlrev_b32_e32 v19, v19, v17
	v_lshrrev_b32_e32 v16, 2, v16
	v_cmp_lt_i32_e32 vcc_lo, 5, v15
	v_and_or_b32 v20, 0x8000, v5, v4
	v_cmp_ne_u32_e64 s0, v19, v23
	v_fma_f16 v4, v38, v18, -v10
	v_add_nc_u32_e32 v10, 0xfffffc10, v22
	v_lshl_or_b32 v14, v20, 16, v14
	v_cndmask_b32_e64 v5, 0, 1, s0
	v_cmp_eq_u32_e64 s0, 3, v15
	v_cvt_f32_f16_e32 v15, v4
	v_lshl_or_b32 v18, v10, 12, v8
	v_or_b32_e32 v17, v17, v5
	s_or_b32 vcc_lo, s0, vcc_lo
	v_mul_f64 v[4:5], v[6:7], s[4:5]
	v_cvt_f64_f32_e32 v[6:7], v15
	v_add_co_ci_u32_e32 v15, vcc_lo, 0, v16, vcc_lo
	v_cmp_ne_u32_e32 vcc_lo, 0, v2
	v_cndmask_b32_e64 v2, 0, 1, vcc_lo
	v_cmp_gt_i32_e32 vcc_lo, 1, v10
	v_lshl_or_b32 v2, v2, 9, 0x7c00
	v_cndmask_b32_e32 v16, v18, v17, vcc_lo
	v_cmp_gt_i32_e32 vcc_lo, 31, v12
	v_and_b32_e32 v17, 7, v16
	v_cndmask_b32_e32 v15, 0x7c00, v15, vcc_lo
	v_add_co_u32 v0, vcc_lo, v0, s3
	v_add_co_ci_u32_e32 v1, vcc_lo, s2, v1, vcc_lo
	v_cmp_eq_u32_e32 vcc_lo, 0x40f, v12
	v_and_or_b32 v4, 0x1ff, v5, v4
	v_cmp_eq_u32_e64 s0, 3, v17
	v_lshrrev_b32_e32 v16, 2, v16
	v_bfe_u32 v18, v5, 20, 11
	v_cndmask_b32_e32 v12, v15, v2, vcc_lo
	v_lshrrev_b32_e32 v15, 16, v3
	v_mul_f64 v[2:3], v[6:7], s[4:5]
	v_cmp_ne_u32_e64 s1, 0, v4
	v_cmp_lt_i32_e32 vcc_lo, 5, v17
	v_lshrrev_b32_e32 v17, 16, v11
	v_lshrrev_b32_e32 v6, 8, v5
	v_and_or_b32 v12, 0x8000, v15, v12
	v_cndmask_b32_e64 v4, 0, 1, s1
	s_or_b32 vcc_lo, s0, vcc_lo
	v_mul_f16_sdwa v7, v37, v17 dst_sel:DWORD dst_unused:UNUSED_PAD src0_sel:WORD_1 src1_sel:DWORD
	v_add_co_ci_u32_e32 v16, vcc_lo, 0, v16, vcc_lo
	v_and_or_b32 v4, 0xffe, v6, v4
	v_sub_nc_u32_e32 v6, 0x3f1, v18
	v_cmp_ne_u32_e32 vcc_lo, 0, v8
	v_fmac_f16_e32 v7, v37, v11
	v_add_nc_u32_e32 v18, 0xfffffc10, v18
	v_or_b32_e32 v19, 0x1000, v4
	v_med3_i32 v20, v6, 0, 13
	v_cndmask_b32_e64 v8, 0, 1, vcc_lo
	v_cmp_gt_i32_e32 vcc_lo, 31, v10
	v_cvt_f32_f16_e32 v6, v7
	v_and_b32_e32 v12, 0xffff, v12
	v_lshrrev_b32_e32 v21, v20, v19
	v_lshl_or_b32 v8, v8, 9, 0x7c00
	v_cndmask_b32_e32 v16, 0x7c00, v16, vcc_lo
	v_and_or_b32 v2, 0x1ff, v3, v2
	v_cmp_eq_u32_e32 vcc_lo, 0x40f, v10
	v_cvt_f64_f32_e32 v[6:7], v6
	v_lshlrev_b32_e32 v10, v20, v21
	v_lshrrev_b32_e32 v15, 8, v3
	v_mul_f16_sdwa v11, v37, v11 dst_sel:DWORD dst_unused:UNUSED_PAD src0_sel:WORD_1 src1_sel:DWORD
	v_cndmask_b32_e32 v8, v16, v8, vcc_lo
	v_cmp_ne_u32_e32 vcc_lo, 0, v2
	v_bfe_u32 v16, v3, 20, 11
	global_store_dword v[0:1], v14, off
	v_fma_f16 v11, v37, v17, -v11
	v_and_or_b32 v8, 0x8000, v9, v8
	v_cndmask_b32_e64 v2, 0, 1, vcc_lo
	v_cmp_ne_u32_e32 vcc_lo, v10, v19
	v_lshl_or_b32 v19, v18, 12, v4
	v_cvt_f32_f16_e32 v11, v11
	v_lshl_or_b32 v12, v8, 16, v12
	v_and_or_b32 v2, 0xffe, v15, v2
	v_cndmask_b32_e64 v10, 0, 1, vcc_lo
	v_sub_nc_u32_e32 v15, 0x3f1, v16
	v_cmp_gt_i32_e32 vcc_lo, 1, v18
	v_lshrrev_b32_e32 v5, 16, v5
	v_or_b32_e32 v9, 0x1000, v2
	v_or_b32_e32 v10, v21, v10
	v_med3_i32 v15, v15, 0, 13
	v_mul_f64 v[6:7], v[6:7], s[4:5]
	v_lshrrev_b32_e32 v3, 16, v3
	v_cndmask_b32_e32 v10, v19, v10, vcc_lo
	v_lshrrev_b32_e32 v19, v15, v9
	v_and_b32_e32 v20, 7, v10
	v_lshlrev_b32_e32 v8, v15, v19
	v_lshrrev_b32_e32 v10, 2, v10
	v_add_nc_u32_e32 v15, 0xfffffc10, v16
	v_cmp_lt_i32_e32 vcc_lo, 5, v20
	v_cmp_eq_u32_e64 s0, 3, v20
	v_cmp_ne_u32_e64 s1, v8, v9
	v_cvt_f64_f32_e32 v[8:9], v11
	v_lshl_or_b32 v11, v15, 12, v2
	s_or_b32 vcc_lo, s0, vcc_lo
	v_cndmask_b32_e64 v14, 0, 1, s1
	v_add_co_ci_u32_e32 v16, vcc_lo, 0, v10, vcc_lo
	v_cmp_ne_u32_e32 vcc_lo, 0, v4
	v_and_or_b32 v6, 0x1ff, v7, v6
	v_or_b32_e32 v10, v19, v14
	v_lshrrev_b32_e32 v17, 8, v7
	v_bfe_u32 v19, v7, 20, 11
	v_cndmask_b32_e64 v4, 0, 1, vcc_lo
	v_cmp_gt_i32_e32 vcc_lo, 1, v15
	v_lshrrev_b32_e32 v7, 16, v7
	v_lshl_or_b32 v4, v4, 9, 0x7c00
	v_cndmask_b32_e32 v14, v11, v10, vcc_lo
	v_cmp_ne_u32_e32 vcc_lo, 0, v6
	ds_read2_b32 v[10:11], v34 offset0:156 offset1:182
	v_mul_f64 v[8:9], v[8:9], s[4:5]
	v_and_b32_e32 v20, 7, v14
	v_cndmask_b32_e64 v6, 0, 1, vcc_lo
	v_cmp_gt_i32_e32 vcc_lo, 31, v18
	v_cmp_eq_u32_e64 s0, 3, v20
	v_and_or_b32 v6, 0xffe, v17, v6
	v_cndmask_b32_e32 v16, 0x7c00, v16, vcc_lo
	v_cmp_eq_u32_e32 vcc_lo, 0x40f, v18
	v_sub_nc_u32_e32 v17, 0x3f1, v19
	v_cndmask_b32_e32 v4, v16, v4, vcc_lo
	v_cmp_lt_i32_e32 vcc_lo, 5, v20
	v_or_b32_e32 v16, 0x1000, v6
	v_med3_i32 v17, v17, 0, 13
	v_and_or_b32 v18, 0x8000, v5, v4
	v_lshrrev_b32_e32 v4, 2, v14
	s_or_b32 vcc_lo, s0, vcc_lo
	s_waitcnt lgkmcnt(0)
	v_lshrrev_b32_e32 v14, 16, v10
	v_lshrrev_b32_e32 v20, v17, v16
	v_bfe_u32 v22, v9, 20, 11
	v_add_co_ci_u32_e32 v4, vcc_lo, 0, v4, vcc_lo
	v_cmp_ne_u32_e32 vcc_lo, 0, v2
	v_mul_f16_sdwa v5, v36, v14 dst_sel:DWORD dst_unused:UNUSED_PAD src0_sel:WORD_1 src1_sel:DWORD
	v_lshlrev_b32_e32 v17, v17, v20
	v_and_b32_e32 v18, 0xffff, v18
	v_cndmask_b32_e64 v2, 0, 1, vcc_lo
	v_cmp_gt_i32_e32 vcc_lo, 31, v15
	v_fmac_f16_e32 v5, v36, v10
	v_mul_f16_sdwa v10, v36, v10 dst_sel:DWORD dst_unused:UNUSED_PAD src0_sel:WORD_1 src1_sel:DWORD
	v_lshl_or_b32 v2, v2, 9, 0x7c00
	v_cndmask_b32_e32 v21, 0x7c00, v4, vcc_lo
	v_and_or_b32 v4, 0x1ff, v9, v8
	v_cmp_ne_u32_e32 vcc_lo, v17, v16
	v_cvt_f32_f16_e32 v5, v5
	v_add_nc_u32_e32 v16, 0xfffffc10, v19
	v_lshrrev_b32_e32 v19, 8, v9
	v_lshrrev_b32_e32 v9, 16, v9
	v_cndmask_b32_e64 v8, 0, 1, vcc_lo
	v_cmp_ne_u32_e32 vcc_lo, 0, v4
	v_cvt_f64_f32_e32 v[4:5], v5
	v_or_b32_e32 v8, v20, v8
	v_cndmask_b32_e64 v17, 0, 1, vcc_lo
	v_cmp_eq_u32_e32 vcc_lo, 0x40f, v15
	v_lshl_or_b32 v15, v16, 12, v6
	v_and_or_b32 v17, 0xffe, v19, v17
	v_cndmask_b32_e32 v2, v21, v2, vcc_lo
	v_sub_nc_u32_e32 v19, 0x3f1, v22
	v_cmp_gt_i32_e32 vcc_lo, 1, v16
	v_and_or_b32 v20, 0x8000, v3, v2
	v_med3_i32 v19, v19, 0, 13
	v_cndmask_b32_e32 v8, v15, v8, vcc_lo
	v_or_b32_e32 v15, 0x1000, v17
	v_add_co_u32 v0, vcc_lo, v0, s3
	v_add_co_ci_u32_e32 v1, vcc_lo, s2, v1, vcc_lo
	v_lshrrev_b32_e32 v21, v19, v15
	v_mul_f64 v[2:3], v[4:5], s[4:5]
	v_and_b32_e32 v23, 7, v8
	v_fma_f16 v5, v36, v14, -v10
	v_lshrrev_b32_e32 v8, 2, v8
	v_lshlrev_b32_e32 v4, v19, v21
	v_add_nc_u32_e32 v10, 0xfffffc10, v22
	v_cmp_lt_i32_e32 vcc_lo, 5, v23
	v_cvt_f32_f16_e32 v5, v5
	global_store_dword v[0:1], v12, off
	v_cmp_ne_u32_e64 s0, v4, v15
	v_lshl_or_b32 v15, v10, 12, v17
	v_lshl_or_b32 v12, v20, 16, v18
	v_cndmask_b32_e64 v4, 0, 1, s0
	v_cmp_eq_u32_e64 s0, 3, v23
	v_or_b32_e32 v14, v21, v4
	s_or_b32 vcc_lo, s0, vcc_lo
	v_cvt_f64_f32_e32 v[4:5], v5
	v_add_co_ci_u32_e32 v8, vcc_lo, 0, v8, vcc_lo
	v_cmp_ne_u32_e32 vcc_lo, 0, v6
	v_and_or_b32 v2, 0x1ff, v3, v2
	v_lshrrev_b32_e32 v18, 8, v3
	v_bfe_u32 v19, v3, 20, 11
	v_cndmask_b32_e64 v6, 0, 1, vcc_lo
	v_cmp_gt_i32_e32 vcc_lo, 1, v10
	v_lshl_or_b32 v6, v6, 9, 0x7c00
	v_cndmask_b32_e32 v14, v15, v14, vcc_lo
	v_cmp_gt_i32_e32 vcc_lo, 31, v16
	v_and_b32_e32 v15, 7, v14
	v_cndmask_b32_e32 v8, 0x7c00, v8, vcc_lo
	v_cmp_ne_u32_e32 vcc_lo, 0, v2
	v_mul_f64 v[4:5], v[4:5], s[4:5]
	v_lshrrev_b32_e32 v14, 2, v14
	v_cmp_eq_u32_e64 s0, 3, v15
	v_cndmask_b32_e64 v2, 0, 1, vcc_lo
	v_cmp_eq_u32_e32 vcc_lo, 0x40f, v16
	v_lshrrev_b32_e32 v16, 16, v11
	v_and_or_b32 v2, 0xffe, v18, v2
	v_cndmask_b32_e32 v6, v8, v6, vcc_lo
	v_cmp_lt_i32_e32 vcc_lo, 5, v15
	v_sub_nc_u32_e32 v8, 0x3f1, v19
	v_mul_f16_sdwa v20, v35, v16 dst_sel:DWORD dst_unused:UNUSED_PAD src0_sel:WORD_1 src1_sel:DWORD
	v_or_b32_e32 v15, 0x1000, v2
	v_and_or_b32 v21, 0x8000, v7, v6
	s_or_b32 vcc_lo, s0, vcc_lo
	v_med3_i32 v8, v8, 0, 13
	v_add_co_ci_u32_e32 v14, vcc_lo, 0, v14, vcc_lo
	v_cmp_ne_u32_e32 vcc_lo, 0, v17
	v_fmac_f16_e32 v20, v35, v11
	v_lshrrev_b32_e32 v18, v8, v15
	v_and_or_b32 v4, 0x1ff, v5, v4
	v_mul_f16_sdwa v11, v35, v11 dst_sel:DWORD dst_unused:UNUSED_PAD src0_sel:WORD_1 src1_sel:DWORD
	v_cndmask_b32_e64 v17, 0, 1, vcc_lo
	v_cmp_gt_i32_e32 vcc_lo, 31, v10
	v_lshlrev_b32_e32 v6, v8, v18
	v_cvt_f32_f16_e32 v7, v20
	v_fma_f16 v11, v35, v16, -v11
	v_lshl_or_b32 v17, v17, 9, 0x7c00
	v_cndmask_b32_e32 v14, 0x7c00, v14, vcc_lo
	v_cmp_eq_u32_e32 vcc_lo, 0x40f, v10
	v_cvt_f32_f16_e32 v11, v11
	v_cndmask_b32_e32 v8, v14, v17, vcc_lo
	v_cmp_ne_u32_e32 vcc_lo, v6, v15
	v_cvt_f64_f32_e32 v[6:7], v7
	v_lshrrev_b32_e32 v14, 8, v5
	v_bfe_u32 v15, v5, 20, 11
	v_add_nc_u32_e32 v17, 0xfffffc10, v19
	v_cndmask_b32_e64 v10, 0, 1, vcc_lo
	v_cmp_ne_u32_e32 vcc_lo, 0, v4
	v_and_or_b32 v8, 0x8000, v9, v8
	v_add_nc_u32_e32 v16, 0xfffffc10, v15
	v_or_b32_e32 v9, v18, v10
	v_cndmask_b32_e64 v4, 0, 1, vcc_lo
	v_lshl_or_b32 v10, v17, 12, v2
	v_cmp_gt_i32_e32 vcc_lo, 1, v17
	v_and_b32_e32 v18, 0xffff, v21
	v_and_or_b32 v4, 0xffe, v14, v4
	v_sub_nc_u32_e32 v14, 0x3f1, v15
	v_cndmask_b32_e32 v10, v10, v9, vcc_lo
	v_add_co_u32 v0, vcc_lo, v0, s3
	v_or_b32_e32 v19, 0x1000, v4
	v_med3_i32 v14, v14, 0, 13
	v_add_co_ci_u32_e32 v1, vcc_lo, s2, v1, vcc_lo
	v_and_b32_e32 v20, 7, v10
	v_mul_f64 v[6:7], v[6:7], s[4:5]
	v_lshrrev_b32_e32 v21, v14, v19
	v_lshl_or_b32 v18, v8, 16, v18
	v_add_co_u32 v8, vcc_lo, v0, s3
	v_add_co_ci_u32_e32 v9, vcc_lo, s2, v1, vcc_lo
	v_lshlrev_b32_e32 v14, v14, v21
	v_cmp_lt_i32_e32 vcc_lo, 5, v20
	v_cmp_eq_u32_e64 s0, 3, v20
	v_lshrrev_b32_e32 v10, 2, v10
	v_cmp_ne_u32_e64 s1, v14, v19
	s_or_b32 vcc_lo, s0, vcc_lo
	v_add_co_ci_u32_e32 v19, vcc_lo, 0, v10, vcc_lo
	v_cndmask_b32_e64 v14, 0, 1, s1
	v_cmp_ne_u32_e32 vcc_lo, 0, v2
	v_cvt_f64_f32_e32 v[10:11], v11
	v_and_or_b32 v6, 0x1ff, v7, v6
	v_or_b32_e32 v20, v21, v14
	v_lshl_or_b32 v21, v16, 12, v4
	v_cndmask_b32_e64 v2, 0, 1, vcc_lo
	v_cmp_gt_i32_e32 vcc_lo, 1, v16
	ds_read2_b32 v[14:15], v34 offset0:208 offset1:234
	v_lshrrev_b32_e32 v22, 8, v7
	v_bfe_u32 v23, v7, 20, 11
	v_lshl_or_b32 v2, v2, 9, 0x7c00
	v_cndmask_b32_e32 v20, v21, v20, vcc_lo
	v_cmp_gt_i32_e32 vcc_lo, 31, v17
	global_store_dword v[0:1], v12, off
	global_store_dword v[8:9], v18, off
	v_lshrrev_b32_e32 v7, 16, v7
	v_and_b32_e32 v21, 7, v20
	v_cndmask_b32_e32 v19, 0x7c00, v19, vcc_lo
	v_cmp_ne_u32_e32 vcc_lo, 0, v6
	v_cmp_eq_u32_e64 s0, 3, v21
	v_cndmask_b32_e64 v6, 0, 1, vcc_lo
	v_cmp_eq_u32_e32 vcc_lo, 0x40f, v17
	v_and_or_b32 v6, 0xffe, v22, v6
	v_cndmask_b32_e32 v17, v19, v2, vcc_lo
	v_cmp_lt_i32_e32 vcc_lo, 5, v21
	v_lshrrev_b32_e32 v19, 16, v3
	v_mul_f64 v[2:3], v[10:11], s[4:5]
	v_lshrrev_b32_e32 v11, 2, v20
	v_sub_nc_u32_e32 v22, 0x3f1, v23
	s_or_b32 vcc_lo, s0, vcc_lo
	v_or_b32_e32 v20, 0x1000, v6
	s_waitcnt lgkmcnt(0)
	v_lshrrev_b32_e32 v10, 16, v14
	v_add_co_ci_u32_e32 v11, vcc_lo, 0, v11, vcc_lo
	v_med3_i32 v21, v22, 0, 13
	v_cmp_ne_u32_e32 vcc_lo, 0, v4
	v_mul_f16_sdwa v22, v33, v10 dst_sel:DWORD dst_unused:UNUSED_PAD src0_sel:WORD_1 src1_sel:DWORD
	v_and_or_b32 v17, 0x8000, v19, v17
	v_lshrrev_b32_e32 v24, v21, v20
	v_cndmask_b32_e64 v4, 0, 1, vcc_lo
	v_cmp_gt_i32_e32 vcc_lo, 31, v16
	v_fmac_f16_e32 v22, v33, v14
	v_and_b32_e32 v17, 0xffff, v17
	v_lshlrev_b32_e32 v19, v21, v24
	v_lshl_or_b32 v4, v4, 9, 0x7c00
	v_cndmask_b32_e32 v11, 0x7c00, v11, vcc_lo
	v_cmp_eq_u32_e32 vcc_lo, 0x40f, v16
	v_and_or_b32 v2, 0x1ff, v3, v2
	v_cvt_f32_f16_e32 v21, v22
	v_lshrrev_b32_e32 v16, 16, v5
	v_bfe_u32 v22, v3, 20, 11
	v_cndmask_b32_e32 v11, v11, v4, vcc_lo
	v_cmp_ne_u32_e32 vcc_lo, v19, v20
	v_cvt_f64_f32_e32 v[4:5], v21
	v_add_nc_u32_e32 v20, 0xfffffc10, v23
	v_lshrrev_b32_e32 v21, 8, v3
	v_and_or_b32 v11, 0x8000, v16, v11
	v_cndmask_b32_e64 v19, 0, 1, vcc_lo
	v_cmp_ne_u32_e32 vcc_lo, 0, v2
	v_lshl_or_b32 v11, v11, 16, v17
	v_or_b32_e32 v16, v24, v19
	v_cndmask_b32_e64 v2, 0, 1, vcc_lo
	v_lshl_or_b32 v19, v20, 12, v6
	v_cmp_gt_i32_e32 vcc_lo, 1, v20
	v_and_or_b32 v2, 0xffe, v21, v2
	v_sub_nc_u32_e32 v21, 0x3f1, v22
	v_cndmask_b32_e32 v16, v19, v16, vcc_lo
	v_or_b32_e32 v19, 0x1000, v2
	v_med3_i32 v21, v21, 0, 13
	v_and_b32_e32 v12, 7, v16
	v_mul_f64 v[0:1], v[4:5], s[4:5]
	v_add_co_u32 v4, vcc_lo, v8, s3
	v_lshrrev_b32_e32 v17, v21, v19
	v_add_co_ci_u32_e32 v5, vcc_lo, s2, v9, vcc_lo
	v_cmp_lt_i32_e32 vcc_lo, 5, v12
	v_cmp_eq_u32_e64 s0, 3, v12
	v_lshlrev_b32_e32 v8, v21, v17
	v_mul_f16_sdwa v9, v33, v14 dst_sel:DWORD dst_unused:UNUSED_PAD src0_sel:WORD_1 src1_sel:DWORD
	v_lshrrev_b32_e32 v12, 2, v16
	global_store_dword v[4:5], v11, off
	s_or_b32 vcc_lo, s0, vcc_lo
	v_cmp_ne_u32_e64 s1, v8, v19
	v_fma_f16 v9, v33, v10, -v9
	v_add_co_ci_u32_e32 v12, vcc_lo, 0, v12, vcc_lo
	v_add_nc_u32_e32 v10, 0xfffffc10, v22
	v_cndmask_b32_e64 v8, 0, 1, s1
	v_cmp_ne_u32_e32 vcc_lo, 0, v6
	v_cvt_f32_f16_e32 v9, v9
	v_lshl_or_b32 v16, v10, 12, v2
	v_or_b32_e32 v14, v17, v8
	v_cndmask_b32_e64 v6, 0, 1, vcc_lo
	v_cmp_gt_i32_e32 vcc_lo, 1, v10
	v_cvt_f64_f32_e32 v[8:9], v9
	v_and_or_b32 v0, 0x1ff, v1, v0
	v_lshrrev_b32_e32 v17, 8, v1
	v_lshl_or_b32 v6, v6, 9, 0x7c00
	v_cndmask_b32_e32 v14, v16, v14, vcc_lo
	v_cmp_gt_i32_e32 vcc_lo, 31, v20
	v_bfe_u32 v18, v1, 20, 11
	v_and_b32_e32 v16, 7, v14
	v_cndmask_b32_e32 v12, 0x7c00, v12, vcc_lo
	v_cmp_ne_u32_e32 vcc_lo, 0, v0
	v_lshrrev_b32_e32 v14, 2, v14
	v_cmp_eq_u32_e64 s0, 3, v16
	v_cndmask_b32_e64 v0, 0, 1, vcc_lo
	v_cmp_eq_u32_e32 vcc_lo, 0x40f, v20
	v_and_or_b32 v0, 0xffe, v17, v0
	v_cndmask_b32_e32 v6, v12, v6, vcc_lo
	v_cmp_lt_i32_e32 vcc_lo, 5, v16
	v_lshrrev_b32_e32 v16, 16, v15
	v_mul_f64 v[8:9], v[8:9], s[4:5]
	v_sub_nc_u32_e32 v12, 0x3f1, v18
	v_or_b32_e32 v17, 0x1000, v0
	s_or_b32 vcc_lo, s0, vcc_lo
	v_mul_f16_sdwa v19, v32, v16 dst_sel:DWORD dst_unused:UNUSED_PAD src0_sel:WORD_1 src1_sel:DWORD
	v_add_co_ci_u32_e32 v14, vcc_lo, 0, v14, vcc_lo
	v_cmp_ne_u32_e32 vcc_lo, 0, v2
	v_med3_i32 v12, v12, 0, 13
	v_fmac_f16_e32 v19, v32, v15
	v_and_or_b32 v6, 0x8000, v7, v6
	v_mul_f16_sdwa v15, v32, v15 dst_sel:DWORD dst_unused:UNUSED_PAD src0_sel:WORD_1 src1_sel:DWORD
	v_cndmask_b32_e64 v2, 0, 1, vcc_lo
	v_cmp_gt_i32_e32 vcc_lo, 31, v10
	v_lshrrev_b32_e32 v20, v12, v17
	v_cvt_f32_f16_e32 v19, v19
	v_and_b32_e32 v6, 0xffff, v6
	v_lshl_or_b32 v2, v2, 9, 0x7c00
	v_cndmask_b32_e32 v14, 0x7c00, v14, vcc_lo
	v_cmp_eq_u32_e32 vcc_lo, 0x40f, v10
	v_lshlrev_b32_e32 v12, v12, v20
	v_and_or_b32 v8, 0x1ff, v9, v8
	v_cndmask_b32_e32 v10, v14, v2, vcc_lo
	v_lshrrev_b32_e32 v14, 16, v3
	v_cvt_f64_f32_e32 v[2:3], v19
	v_cmp_ne_u32_e32 vcc_lo, v12, v17
	v_add_nc_u32_e32 v17, 0xfffffc10, v18
	v_bfe_u32 v18, v9, 20, 11
	v_and_or_b32 v7, 0x8000, v14, v10
	v_lshrrev_b32_e32 v14, 8, v9
	v_cndmask_b32_e64 v12, 0, 1, vcc_lo
	v_cmp_ne_u32_e32 vcc_lo, 0, v8
	v_sub_nc_u32_e32 v11, 0x3f1, v18
	v_lshl_or_b32 v6, v7, 16, v6
	v_lshrrev_b32_e32 v9, 16, v9
	v_or_b32_e32 v10, v20, v12
	v_cndmask_b32_e64 v8, 0, 1, vcc_lo
	v_lshl_or_b32 v12, v17, 12, v0
	v_cmp_gt_i32_e32 vcc_lo, 1, v17
	v_med3_i32 v11, v11, 0, 13
	v_and_or_b32 v8, 0xffe, v14, v8
	v_cndmask_b32_e32 v10, v12, v10, vcc_lo
	v_add_co_u32 v4, vcc_lo, v4, s3
	v_mul_f64 v[2:3], v[2:3], s[4:5]
	v_or_b32_e32 v12, 0x1000, v8
	v_and_b32_e32 v7, 7, v10
	v_add_co_ci_u32_e32 v5, vcc_lo, s2, v5, vcc_lo
	v_lshrrev_b32_e32 v14, v11, v12
	v_cmp_lt_i32_e32 vcc_lo, 5, v7
	v_cmp_eq_u32_e64 s0, 3, v7
	global_store_dword v[4:5], v6, off
	v_lshrrev_b32_e32 v6, 2, v10
	v_lshlrev_b32_e32 v10, v11, v14
	v_fma_f16 v11, v32, v16, -v15
	s_or_b32 vcc_lo, s0, vcc_lo
	v_add_co_ci_u32_e32 v15, vcc_lo, 0, v6, vcc_lo
	v_cmp_ne_u32_e32 vcc_lo, v10, v12
	ds_read2_b32 v[6:7], v13 offset0:4 offset1:30
	v_cvt_f32_f16_e32 v10, v11
	v_add_nc_u32_e32 v13, 0xfffffc10, v18
	v_cndmask_b32_e64 v12, 0, 1, vcc_lo
	v_and_or_b32 v2, 0x1ff, v3, v2
	v_cmp_gt_i32_e32 vcc_lo, 31, v17
	v_cvt_f64_f32_e32 v[10:11], v10
	v_lshrrev_b32_e32 v16, 8, v3
	v_or_b32_e32 v12, v14, v12
	v_lshl_or_b32 v14, v13, 12, v8
	v_cndmask_b32_e32 v15, 0x7c00, v15, vcc_lo
	v_cmp_ne_u32_e32 vcc_lo, 0, v2
	v_bfe_u32 v18, v3, 20, 11
	v_cndmask_b32_e64 v2, 0, 1, vcc_lo
	v_cmp_ne_u32_e32 vcc_lo, 0, v0
	v_and_or_b32 v2, 0xffe, v16, v2
	v_cndmask_b32_e64 v0, 0, 1, vcc_lo
	v_cmp_gt_i32_e32 vcc_lo, 1, v13
	s_waitcnt lgkmcnt(0)
	v_lshrrev_b32_e32 v16, 16, v6
	v_or_b32_e32 v20, 0x1000, v2
	v_lshl_or_b32 v0, v0, 9, 0x7c00
	v_cndmask_b32_e32 v12, v14, v12, vcc_lo
	v_sub_nc_u32_e32 v14, 0x3f1, v18
	v_cmp_eq_u32_e32 vcc_lo, 0x40f, v17
	v_mul_f16_sdwa v21, v31, v16 dst_sel:DWORD dst_unused:UNUSED_PAD src0_sel:WORD_1 src1_sel:DWORD
	v_mul_f64 v[10:11], v[10:11], s[4:5]
	v_and_b32_e32 v19, 7, v12
	v_med3_i32 v14, v14, 0, 13
	v_cndmask_b32_e32 v15, v15, v0, vcc_lo
	v_lshrrev_b32_e32 v0, 2, v12
	v_fmac_f16_e32 v21, v31, v6
	v_cmp_lt_i32_e32 vcc_lo, 5, v19
	v_cmp_eq_u32_e64 s0, 3, v19
	v_lshrrev_b32_e32 v17, v14, v20
	v_lshrrev_b32_e32 v19, 16, v1
	v_cvt_f32_f16_e32 v1, v21
	v_add_nc_u32_e32 v18, 0xfffffc10, v18
	s_or_b32 vcc_lo, s0, vcc_lo
	v_lshlrev_b32_e32 v12, v14, v17
	v_add_co_ci_u32_e32 v14, vcc_lo, 0, v0, vcc_lo
	v_cmp_ne_u32_e32 vcc_lo, 0, v8
	v_cvt_f64_f32_e32 v[0:1], v1
	v_and_or_b32 v15, 0x8000, v19, v15
	v_mul_f16_sdwa v6, v31, v6 dst_sel:DWORD dst_unused:UNUSED_PAD src0_sel:WORD_1 src1_sel:DWORD
	v_lshrrev_b32_e32 v21, 16, v7
	v_cndmask_b32_e64 v8, 0, 1, vcc_lo
	v_cmp_ne_u32_e32 vcc_lo, v12, v20
	v_and_or_b32 v10, 0x1ff, v11, v10
	v_and_b32_e32 v15, 0xffff, v15
	v_fma_f16 v6, v31, v16, -v6
	v_lshl_or_b32 v8, v8, 9, 0x7c00
	v_cndmask_b32_e64 v12, 0, 1, vcc_lo
	v_cmp_gt_i32_e32 vcc_lo, 31, v13
	v_cvt_f32_f16_e32 v6, v6
	v_or_b32_e32 v12, v17, v12
	v_cndmask_b32_e32 v14, 0x7c00, v14, vcc_lo
	v_cmp_eq_u32_e32 vcc_lo, 0x40f, v13
	v_lshl_or_b32 v17, v18, 12, v2
	v_lshrrev_b32_e32 v13, 8, v11
	v_cndmask_b32_e32 v8, v14, v8, vcc_lo
	v_cmp_gt_i32_e32 vcc_lo, 1, v18
	v_bfe_u32 v14, v11, 20, 11
	v_mul_f64 v[0:1], v[0:1], s[4:5]
	v_lshrrev_b32_e32 v11, 16, v11
	v_and_or_b32 v8, 0x8000, v9, v8
	v_cndmask_b32_e32 v12, v17, v12, vcc_lo
	v_cmp_ne_u32_e32 vcc_lo, 0, v10
	v_lshl_or_b32 v15, v8, 16, v15
	v_and_b32_e32 v17, 7, v12
	v_cndmask_b32_e64 v10, 0, 1, vcc_lo
	v_lshrrev_b32_e32 v12, 2, v12
	v_cmp_lt_i32_e32 vcc_lo, 5, v17
	v_and_or_b32 v10, 0xffe, v13, v10
	v_sub_nc_u32_e32 v13, 0x3f1, v14
	v_cmp_eq_u32_e64 s0, 3, v17
	v_or_b32_e32 v9, 0x1000, v10
	v_med3_i32 v13, v13, 0, 13
	s_or_b32 vcc_lo, s0, vcc_lo
	v_and_or_b32 v0, 0x1ff, v1, v0
	v_add_co_ci_u32_e32 v12, vcc_lo, 0, v12, vcc_lo
	v_lshrrev_b32_e32 v17, v13, v9
	v_cmp_gt_i32_e32 vcc_lo, 31, v18
	v_bfe_u32 v16, v1, 20, 11
	v_lshlrev_b32_e32 v8, v13, v17
	v_cndmask_b32_e32 v12, 0x7c00, v12, vcc_lo
	v_cmp_ne_u32_e32 vcc_lo, v8, v9
	v_cvt_f64_f32_e32 v[8:9], v6
	v_add_nc_u32_e32 v6, 0xfffffc10, v14
	v_lshrrev_b32_e32 v14, 8, v1
	v_cndmask_b32_e64 v13, 0, 1, vcc_lo
	v_cmp_ne_u32_e32 vcc_lo, 0, v0
	v_or_b32_e32 v13, v17, v13
	v_cndmask_b32_e64 v0, 0, 1, vcc_lo
	v_cmp_ne_u32_e32 vcc_lo, 0, v2
	v_lshl_or_b32 v17, v6, 12, v10
	v_and_or_b32 v0, 0xffe, v14, v0
	v_cndmask_b32_e64 v2, 0, 1, vcc_lo
	v_cmp_gt_i32_e32 vcc_lo, 1, v6
	v_sub_nc_u32_e32 v14, 0x3f1, v16
	v_lshl_or_b32 v2, v2, 9, 0x7c00
	v_cndmask_b32_e32 v13, v17, v13, vcc_lo
	v_cmp_eq_u32_e32 vcc_lo, 0x40f, v18
	v_or_b32_e32 v17, 0x1000, v0
	v_med3_i32 v14, v14, 0, 13
	v_lshrrev_b32_e32 v18, 16, v3
	v_and_b32_e32 v19, 7, v13
	v_cndmask_b32_e32 v12, v12, v2, vcc_lo
	v_mul_f64 v[2:3], v[8:9], s[4:5]
	v_lshrrev_b32_e32 v20, v14, v17
	v_add_co_u32 v4, vcc_lo, v4, s3
	v_add_co_ci_u32_e32 v5, vcc_lo, s2, v5, vcc_lo
	v_lshlrev_b32_e32 v9, v14, v20
	v_mul_f16_sdwa v8, v30, v21 dst_sel:DWORD dst_unused:UNUSED_PAD src0_sel:WORD_1 src1_sel:DWORD
	v_cmp_lt_i32_e32 vcc_lo, 5, v19
	v_cmp_eq_u32_e64 s0, 3, v19
	v_lshrrev_b32_e32 v13, 2, v13
	v_cmp_ne_u32_e64 s1, v9, v17
	v_fmac_f16_e32 v8, v30, v7
	v_add_nc_u32_e32 v14, 0xfffffc10, v16
	s_or_b32 vcc_lo, s0, vcc_lo
	v_and_or_b32 v12, 0x8000, v18, v12
	v_add_co_ci_u32_e32 v13, vcc_lo, 0, v13, vcc_lo
	v_cndmask_b32_e64 v9, 0, 1, s1
	v_cmp_ne_u32_e32 vcc_lo, 0, v10
	v_cvt_f32_f16_e32 v8, v8
	v_lshl_or_b32 v17, v14, 12, v0
	v_and_or_b32 v2, 0x1ff, v3, v2
	v_or_b32_e32 v16, v20, v9
	v_cndmask_b32_e64 v10, 0, 1, vcc_lo
	v_cmp_gt_i32_e32 vcc_lo, 1, v14
	v_cvt_f64_f32_e32 v[8:9], v8
	v_bfe_u32 v18, v3, 20, 11
	v_and_b32_e32 v12, 0xffff, v12
	v_lshl_or_b32 v10, v10, 9, 0x7c00
	v_cndmask_b32_e32 v16, v17, v16, vcc_lo
	v_cmp_ne_u32_e32 vcc_lo, 0, v2
	v_lshrrev_b32_e32 v17, 8, v3
	v_mul_f16_sdwa v7, v30, v7 dst_sel:DWORD dst_unused:UNUSED_PAD src0_sel:WORD_1 src1_sel:DWORD
	v_and_b32_e32 v19, 7, v16
	v_cndmask_b32_e64 v2, 0, 1, vcc_lo
	v_cmp_gt_i32_e32 vcc_lo, 31, v6
	v_fma_f16 v7, v30, v21, -v7
	v_cmp_eq_u32_e64 s0, 3, v19
	v_and_or_b32 v2, 0xffe, v17, v2
	v_cndmask_b32_e32 v13, 0x7c00, v13, vcc_lo
	v_cmp_eq_u32_e32 vcc_lo, 0x40f, v6
	ds_read_b32 v17, v34 offset:1248
	v_cndmask_b32_e32 v6, v13, v10, vcc_lo
	v_sub_nc_u32_e32 v10, 0x3f1, v18
	v_cmp_lt_i32_e32 vcc_lo, 5, v19
	v_mul_f64 v[8:9], v[8:9], s[4:5]
	v_or_b32_e32 v13, 0x1000, v2
	v_and_or_b32 v6, 0x8000, v11, v6
	v_lshrrev_b32_e32 v11, 2, v16
	v_med3_i32 v10, v10, 0, 13
	s_or_b32 vcc_lo, s0, vcc_lo
	v_lshl_or_b32 v12, v6, 16, v12
	v_add_co_ci_u32_e32 v11, vcc_lo, 0, v11, vcc_lo
	v_lshrrev_b32_e32 v16, v10, v13
	v_cmp_ne_u32_e32 vcc_lo, 0, v0
	v_lshlrev_b32_e32 v6, v10, v16
	v_cndmask_b32_e64 v0, 0, 1, vcc_lo
	v_cmp_gt_i32_e32 vcc_lo, 31, v14
	v_lshl_or_b32 v0, v0, 9, 0x7c00
	v_cndmask_b32_e32 v10, 0x7c00, v11, vcc_lo
	v_cmp_ne_u32_e32 vcc_lo, v6, v13
	v_and_or_b32 v8, 0x1ff, v9, v8
	v_add_nc_u32_e32 v13, 0xfffffc10, v18
	v_lshrrev_b32_e32 v18, 16, v1
	v_cndmask_b32_e64 v6, 0, 1, vcc_lo
	v_cmp_eq_u32_e32 vcc_lo, 0x40f, v14
	v_lshl_or_b32 v11, v13, 12, v2
	v_lshrrev_b32_e32 v14, 8, v9
	v_cndmask_b32_e32 v10, v10, v0, vcc_lo
	v_cmp_ne_u32_e32 vcc_lo, 0, v8
	v_or_b32_e32 v0, v16, v6
	v_cvt_f32_f16_e32 v6, v7
	v_bfe_u32 v16, v9, 20, 11
	v_and_or_b32 v18, 0x8000, v18, v10
	v_cndmask_b32_e64 v8, 0, 1, vcc_lo
	v_cmp_gt_i32_e32 vcc_lo, 1, v13
	v_cvt_f64_f32_e32 v[6:7], v6
	v_lshrrev_b32_e32 v9, 16, v9
	v_and_or_b32 v8, 0xffe, v14, v8
	v_cndmask_b32_e32 v11, v11, v0, vcc_lo
	v_sub_nc_u32_e32 v0, 0x3f1, v16
	s_waitcnt lgkmcnt(0)
	v_lshrrev_b32_e32 v14, 16, v17
	v_add_nc_u32_e32 v16, 0xfffffc10, v16
	v_or_b32_e32 v20, 0x1000, v8
	v_and_b32_e32 v19, 7, v11
	v_med3_i32 v21, v0, 0, 13
	v_mul_f16_sdwa v22, v29, v14 dst_sel:DWORD dst_unused:UNUSED_PAD src0_sel:WORD_1 src1_sel:DWORD
	v_add_co_u32 v0, vcc_lo, v4, s3
	v_add_co_ci_u32_e32 v1, vcc_lo, s2, v5, vcc_lo
	v_lshrrev_b32_e32 v23, v21, v20
	v_fmac_f16_e32 v22, v29, v17
	v_cmp_lt_i32_e32 vcc_lo, 5, v19
	v_cmp_eq_u32_e64 s0, 3, v19
	v_lshrrev_b32_e32 v10, 2, v11
	v_lshlrev_b32_e32 v19, v21, v23
	v_cvt_f32_f16_e32 v11, v22
	v_mul_f64 v[6:7], v[6:7], s[4:5]
	s_or_b32 vcc_lo, s0, vcc_lo
	v_mul_f16_sdwa v17, v29, v17 dst_sel:DWORD dst_unused:UNUSED_PAD src0_sel:WORD_1 src1_sel:DWORD
	v_add_co_ci_u32_e32 v21, vcc_lo, 0, v10, vcc_lo
	v_cmp_ne_u32_e32 vcc_lo, v19, v20
	v_cvt_f64_f32_e32 v[10:11], v11
	v_lshl_or_b32 v20, v16, 12, v8
	v_fma_f16 v14, v29, v14, -v17
	v_cndmask_b32_e64 v19, 0, 1, vcc_lo
	v_cmp_ne_u32_e32 vcc_lo, 0, v2
	v_cvt_f32_f16_e32 v14, v14
	v_or_b32_e32 v19, v23, v19
	v_cndmask_b32_e64 v2, 0, 1, vcc_lo
	v_cmp_gt_i32_e32 vcc_lo, 31, v13
	v_lshl_or_b32 v2, v2, 9, 0x7c00
	v_cndmask_b32_e32 v17, 0x7c00, v21, vcc_lo
	v_cmp_gt_i32_e32 vcc_lo, 1, v16
	v_and_or_b32 v6, 0x1ff, v7, v6
	v_bfe_u32 v21, v7, 20, 11
	v_cndmask_b32_e32 v19, v20, v19, vcc_lo
	v_cmp_eq_u32_e32 vcc_lo, 0x40f, v13
	v_mul_f64 v[10:11], v[10:11], s[4:5]
	v_lshrrev_b32_e32 v20, 8, v7
	v_lshrrev_b32_e32 v7, 16, v7
	v_cndmask_b32_e32 v13, v17, v2, vcc_lo
	v_lshrrev_b32_e32 v17, 16, v3
	v_cvt_f64_f32_e32 v[2:3], v14
	v_cmp_ne_u32_e32 vcc_lo, 0, v6
	v_and_b32_e32 v14, 7, v19
	v_and_or_b32 v13, 0x8000, v17, v13
	v_and_b32_e32 v17, 0xffff, v18
	v_cndmask_b32_e64 v6, 0, 1, vcc_lo
	v_cmp_lt_i32_e32 vcc_lo, 5, v14
	v_cmp_eq_u32_e64 s0, 3, v14
	v_lshrrev_b32_e32 v14, 2, v19
	v_sub_nc_u32_e32 v18, 0x3f1, v21
	v_and_or_b32 v6, 0xffe, v20, v6
	v_lshl_or_b32 v13, v13, 16, v17
	s_or_b32 vcc_lo, s0, vcc_lo
	v_add_co_ci_u32_e32 v14, vcc_lo, 0, v14, vcc_lo
	v_or_b32_e32 v17, 0x1000, v6
	v_med3_i32 v18, v18, 0, 13
	v_cmp_ne_u32_e32 vcc_lo, 0, v8
	v_and_or_b32 v10, 0x1ff, v11, v10
	v_lshrrev_b32_e32 v20, 8, v11
	v_mul_f64 v[2:3], v[2:3], s[4:5]
	v_lshrrev_b32_e32 v19, v18, v17
	v_cndmask_b32_e64 v8, 0, 1, vcc_lo
	v_cmp_gt_i32_e32 vcc_lo, 31, v16
	v_bfe_u32 v22, v11, 20, 11
	v_lshrrev_b32_e32 v11, 16, v11
	v_lshlrev_b32_e32 v18, v18, v19
	v_lshl_or_b32 v8, v8, 9, 0x7c00
	v_cndmask_b32_e32 v14, 0x7c00, v14, vcc_lo
	v_cmp_ne_u32_e32 vcc_lo, 0, v10
	v_cndmask_b32_e64 v10, 0, 1, vcc_lo
	v_cmp_ne_u32_e32 vcc_lo, v18, v17
	v_add_nc_u32_e32 v18, 0xfffffc10, v21
	v_and_or_b32 v10, 0xffe, v20, v10
	v_cndmask_b32_e64 v17, 0, 1, vcc_lo
	v_sub_nc_u32_e32 v20, 0x3f1, v22
	v_cmp_eq_u32_e32 vcc_lo, 0x40f, v16
	v_lshl_or_b32 v16, v18, 12, v6
	v_and_or_b32 v2, 0x1ff, v3, v2
	v_bfe_u32 v21, v3, 20, 11
	v_cndmask_b32_e32 v8, v14, v8, vcc_lo
	v_or_b32_e32 v14, v19, v17
	v_or_b32_e32 v17, 0x1000, v10
	v_med3_i32 v19, v20, 0, 13
	v_cmp_gt_i32_e32 vcc_lo, 1, v18
	v_lshrrev_b32_e32 v20, 8, v3
	v_and_or_b32 v8, 0x8000, v9, v8
	v_sub_nc_u32_e32 v9, 0x3f1, v21
	v_cndmask_b32_e32 v14, v16, v14, vcc_lo
	v_lshrrev_b32_e32 v16, v19, v17
	v_cmp_ne_u32_e32 vcc_lo, 0, v2
	v_med3_i32 v9, v9, 0, 13
	v_and_b32_e32 v23, 7, v14
	v_lshlrev_b32_e32 v19, v19, v16
	v_cndmask_b32_e64 v2, 0, 1, vcc_lo
	v_lshrrev_b32_e32 v14, 2, v14
	v_cmp_lt_i32_e32 vcc_lo, 5, v23
	v_cmp_ne_u32_e64 s0, v19, v17
	v_and_or_b32 v2, 0xffe, v20, v2
	v_add_nc_u32_e32 v20, 0xfffffc10, v22
	v_cndmask_b32_e64 v17, 0, 1, s0
	v_cmp_eq_u32_e64 s0, 3, v23
	v_or_b32_e32 v19, 0x1000, v2
	v_lshl_or_b32 v22, v20, 12, v10
	v_or_b32_e32 v16, v16, v17
	s_or_b32 vcc_lo, s0, vcc_lo
	v_lshrrev_b32_e32 v17, v9, v19
	v_add_co_ci_u32_e32 v14, vcc_lo, 0, v14, vcc_lo
	v_cmp_gt_i32_e32 vcc_lo, 1, v20
	v_lshlrev_b32_e32 v9, v9, v17
	v_cndmask_b32_e32 v16, v22, v16, vcc_lo
	v_cmp_ne_u32_e32 vcc_lo, 0, v6
	v_cndmask_b32_e64 v6, 0, 1, vcc_lo
	v_cmp_ne_u32_e32 vcc_lo, v9, v19
	v_add_nc_u32_e32 v19, 0xfffffc10, v21
	v_and_b32_e32 v21, 7, v16
	v_lshl_or_b32 v6, v6, 9, 0x7c00
	v_cndmask_b32_e64 v9, 0, 1, vcc_lo
	v_cmp_gt_i32_e32 vcc_lo, 31, v18
	v_cmp_gt_i32_e64 s1, 1, v19
	v_cmp_eq_u32_e64 s0, 3, v21
	v_or_b32_e32 v9, v17, v9
	v_lshl_or_b32 v17, v19, 12, v2
	v_cndmask_b32_e32 v14, 0x7c00, v14, vcc_lo
	v_cmp_lt_i32_e32 vcc_lo, 5, v21
	v_cndmask_b32_e64 v9, v17, v9, s1
	v_cmp_eq_u32_e64 s1, 0x40f, v18
	s_or_b32 vcc_lo, s0, vcc_lo
	v_cndmask_b32_e64 v6, v14, v6, s1
	v_lshrrev_b32_e32 v14, 2, v16
	v_and_b32_e32 v16, 7, v9
	v_lshrrev_b32_e32 v9, 2, v9
	v_cmp_gt_i32_e64 s1, 31, v20
	v_and_or_b32 v6, 0x8000, v7, v6
	v_add_co_ci_u32_e32 v14, vcc_lo, 0, v14, vcc_lo
	v_cmp_ne_u32_e32 vcc_lo, 0, v10
	v_cmp_eq_u32_e64 s0, 3, v16
	v_and_b32_e32 v7, 0xffff, v8
	v_cndmask_b32_e64 v14, 0x7c00, v14, s1
	v_cndmask_b32_e64 v10, 0, 1, vcc_lo
	v_cmp_lt_i32_e32 vcc_lo, 5, v16
	v_lshl_or_b32 v10, v10, 9, 0x7c00
	s_or_b32 vcc_lo, s0, vcc_lo
	v_add_co_ci_u32_e32 v9, vcc_lo, 0, v9, vcc_lo
	v_cmp_ne_u32_e32 vcc_lo, 0, v2
	v_cndmask_b32_e64 v2, 0, 1, vcc_lo
	v_cmp_eq_u32_e32 vcc_lo, 0x40f, v20
	v_lshl_or_b32 v2, v2, 9, 0x7c00
	v_cndmask_b32_e32 v10, v14, v10, vcc_lo
	v_cmp_gt_i32_e32 vcc_lo, 31, v19
	v_and_or_b32 v8, 0x8000, v11, v10
	v_cndmask_b32_e32 v9, 0x7c00, v9, vcc_lo
	v_cmp_eq_u32_e32 vcc_lo, 0x40f, v19
	v_lshrrev_b32_e32 v10, 16, v3
	v_lshl_or_b32 v11, v6, 16, v7
	v_and_b32_e32 v8, 0xffff, v8
	v_cndmask_b32_e32 v9, v9, v2, vcc_lo
	v_add_co_u32 v2, vcc_lo, v0, s3
	v_add_co_ci_u32_e32 v3, vcc_lo, s2, v1, vcc_lo
	v_and_or_b32 v9, 0x8000, v10, v9
	v_add_co_u32 v6, vcc_lo, v2, s3
	v_add_co_ci_u32_e32 v7, vcc_lo, s2, v3, vcc_lo
	v_lshl_or_b32 v10, v9, 16, v8
	v_add_co_u32 v8, vcc_lo, v6, s3
	v_add_co_ci_u32_e32 v9, vcc_lo, s2, v7, vcc_lo
	global_store_dword v[4:5], v15, off
	global_store_dword v[0:1], v12, off
	global_store_dword v[2:3], v13, off
	global_store_dword v[6:7], v11, off
	global_store_dword v[8:9], v10, off
.LBB0_10:
	s_endpgm
	.section	.rodata,"a",@progbits
	.p2align	6, 0x0
	.amdhsa_kernel bluestein_single_fwd_len338_dim1_half_op_CI_CI
		.amdhsa_group_segment_fixed_size 2704
		.amdhsa_private_segment_fixed_size 0
		.amdhsa_kernarg_size 104
		.amdhsa_user_sgpr_count 6
		.amdhsa_user_sgpr_private_segment_buffer 1
		.amdhsa_user_sgpr_dispatch_ptr 0
		.amdhsa_user_sgpr_queue_ptr 0
		.amdhsa_user_sgpr_kernarg_segment_ptr 1
		.amdhsa_user_sgpr_dispatch_id 0
		.amdhsa_user_sgpr_flat_scratch_init 0
		.amdhsa_user_sgpr_private_segment_size 0
		.amdhsa_wavefront_size32 1
		.amdhsa_uses_dynamic_stack 0
		.amdhsa_system_sgpr_private_segment_wavefront_offset 0
		.amdhsa_system_sgpr_workgroup_id_x 1
		.amdhsa_system_sgpr_workgroup_id_y 0
		.amdhsa_system_sgpr_workgroup_id_z 0
		.amdhsa_system_sgpr_workgroup_info 0
		.amdhsa_system_vgpr_workitem_id 0
		.amdhsa_next_free_vgpr 186
		.amdhsa_next_free_sgpr 20
		.amdhsa_reserve_vcc 1
		.amdhsa_reserve_flat_scratch 0
		.amdhsa_float_round_mode_32 0
		.amdhsa_float_round_mode_16_64 0
		.amdhsa_float_denorm_mode_32 3
		.amdhsa_float_denorm_mode_16_64 3
		.amdhsa_dx10_clamp 1
		.amdhsa_ieee_mode 1
		.amdhsa_fp16_overflow 0
		.amdhsa_workgroup_processor_mode 1
		.amdhsa_memory_ordered 1
		.amdhsa_forward_progress 0
		.amdhsa_shared_vgpr_count 0
		.amdhsa_exception_fp_ieee_invalid_op 0
		.amdhsa_exception_fp_denorm_src 0
		.amdhsa_exception_fp_ieee_div_zero 0
		.amdhsa_exception_fp_ieee_overflow 0
		.amdhsa_exception_fp_ieee_underflow 0
		.amdhsa_exception_fp_ieee_inexact 0
		.amdhsa_exception_int_div_zero 0
	.end_amdhsa_kernel
	.text
.Lfunc_end0:
	.size	bluestein_single_fwd_len338_dim1_half_op_CI_CI, .Lfunc_end0-bluestein_single_fwd_len338_dim1_half_op_CI_CI
                                        ; -- End function
	.section	.AMDGPU.csdata,"",@progbits
; Kernel info:
; codeLenInByte = 24472
; NumSgprs: 22
; NumVgprs: 186
; ScratchSize: 0
; MemoryBound: 0
; FloatMode: 240
; IeeeMode: 1
; LDSByteSize: 2704 bytes/workgroup (compile time only)
; SGPRBlocks: 2
; VGPRBlocks: 23
; NumSGPRsForWavesPerEU: 22
; NumVGPRsForWavesPerEU: 186
; Occupancy: 5
; WaveLimiterHint : 1
; COMPUTE_PGM_RSRC2:SCRATCH_EN: 0
; COMPUTE_PGM_RSRC2:USER_SGPR: 6
; COMPUTE_PGM_RSRC2:TRAP_HANDLER: 0
; COMPUTE_PGM_RSRC2:TGID_X_EN: 1
; COMPUTE_PGM_RSRC2:TGID_Y_EN: 0
; COMPUTE_PGM_RSRC2:TGID_Z_EN: 0
; COMPUTE_PGM_RSRC2:TIDIG_COMP_CNT: 0
	.text
	.p2alignl 6, 3214868480
	.fill 48, 4, 3214868480
	.type	__hip_cuid_c385ac99c458ef9e,@object ; @__hip_cuid_c385ac99c458ef9e
	.section	.bss,"aw",@nobits
	.globl	__hip_cuid_c385ac99c458ef9e
__hip_cuid_c385ac99c458ef9e:
	.byte	0                               ; 0x0
	.size	__hip_cuid_c385ac99c458ef9e, 1

	.ident	"AMD clang version 19.0.0git (https://github.com/RadeonOpenCompute/llvm-project roc-6.4.0 25133 c7fe45cf4b819c5991fe208aaa96edf142730f1d)"
	.section	".note.GNU-stack","",@progbits
	.addrsig
	.addrsig_sym __hip_cuid_c385ac99c458ef9e
	.amdgpu_metadata
---
amdhsa.kernels:
  - .args:
      - .actual_access:  read_only
        .address_space:  global
        .offset:         0
        .size:           8
        .value_kind:     global_buffer
      - .actual_access:  read_only
        .address_space:  global
        .offset:         8
        .size:           8
        .value_kind:     global_buffer
      - .actual_access:  read_only
        .address_space:  global
        .offset:         16
        .size:           8
        .value_kind:     global_buffer
      - .actual_access:  read_only
        .address_space:  global
        .offset:         24
        .size:           8
        .value_kind:     global_buffer
      - .actual_access:  read_only
        .address_space:  global
        .offset:         32
        .size:           8
        .value_kind:     global_buffer
      - .offset:         40
        .size:           8
        .value_kind:     by_value
      - .address_space:  global
        .offset:         48
        .size:           8
        .value_kind:     global_buffer
      - .address_space:  global
        .offset:         56
        .size:           8
        .value_kind:     global_buffer
      - .address_space:  global
        .offset:         64
        .size:           8
        .value_kind:     global_buffer
      - .address_space:  global
        .offset:         72
        .size:           8
        .value_kind:     global_buffer
      - .offset:         80
        .size:           4
        .value_kind:     by_value
      - .address_space:  global
        .offset:         88
        .size:           8
        .value_kind:     global_buffer
      - .address_space:  global
        .offset:         96
        .size:           8
        .value_kind:     global_buffer
    .group_segment_fixed_size: 2704
    .kernarg_segment_align: 8
    .kernarg_segment_size: 104
    .language:       OpenCL C
    .language_version:
      - 2
      - 0
    .max_flat_workgroup_size: 52
    .name:           bluestein_single_fwd_len338_dim1_half_op_CI_CI
    .private_segment_fixed_size: 0
    .sgpr_count:     22
    .sgpr_spill_count: 0
    .symbol:         bluestein_single_fwd_len338_dim1_half_op_CI_CI.kd
    .uniform_work_group_size: 1
    .uses_dynamic_stack: false
    .vgpr_count:     186
    .vgpr_spill_count: 0
    .wavefront_size: 32
    .workgroup_processor_mode: 1
amdhsa.target:   amdgcn-amd-amdhsa--gfx1030
amdhsa.version:
  - 1
  - 2
...

	.end_amdgpu_metadata
